;; amdgpu-corpus repo=ROCm/rocFFT kind=compiled arch=gfx906 opt=O3
	.text
	.amdgcn_target "amdgcn-amd-amdhsa--gfx906"
	.amdhsa_code_object_version 6
	.protected	fft_rtc_fwd_len1156_factors_17_2_17_2_wgs_204_tpt_68_halfLds_dp_op_CI_CI_unitstride_sbrr_dirReg ; -- Begin function fft_rtc_fwd_len1156_factors_17_2_17_2_wgs_204_tpt_68_halfLds_dp_op_CI_CI_unitstride_sbrr_dirReg
	.globl	fft_rtc_fwd_len1156_factors_17_2_17_2_wgs_204_tpt_68_halfLds_dp_op_CI_CI_unitstride_sbrr_dirReg
	.p2align	8
	.type	fft_rtc_fwd_len1156_factors_17_2_17_2_wgs_204_tpt_68_halfLds_dp_op_CI_CI_unitstride_sbrr_dirReg,@function
fft_rtc_fwd_len1156_factors_17_2_17_2_wgs_204_tpt_68_halfLds_dp_op_CI_CI_unitstride_sbrr_dirReg: ; @fft_rtc_fwd_len1156_factors_17_2_17_2_wgs_204_tpt_68_halfLds_dp_op_CI_CI_unitstride_sbrr_dirReg
; %bb.0:
	s_load_dwordx4 s[12:15], s[4:5], 0x58
	s_load_dwordx4 s[8:11], s[4:5], 0x0
	;; [unrolled: 1-line block ×3, first 2 shown]
	v_mul_u32_u24_e32 v1, 0x3c4, v0
	v_lshrrev_b32_e32 v1, 16, v1
	v_mad_u64_u32 v[68:69], s[0:1], s6, 3, v[1:2]
	v_mov_b32_e32 v1, 0
	v_mov_b32_e32 v4, 0
	;; [unrolled: 1-line block ×3, first 2 shown]
	s_waitcnt lgkmcnt(0)
	v_cmp_lt_u64_e64 s[0:1], s[10:11], 2
	v_mov_b32_e32 v5, 0
	v_mov_b32_e32 v97, v5
	;; [unrolled: 1-line block ×3, first 2 shown]
	s_and_b64 vcc, exec, s[0:1]
	v_mov_b32_e32 v96, v4
	v_mov_b32_e32 v100, v68
	s_cbranch_vccnz .LBB0_8
; %bb.1:
	s_load_dwordx2 s[0:1], s[4:5], 0x10
	s_add_u32 s2, s18, 8
	s_addc_u32 s3, s19, 0
	s_add_u32 s6, s16, 8
	v_mov_b32_e32 v4, 0
	s_addc_u32 s7, s17, 0
	v_mov_b32_e32 v5, 0
	s_waitcnt lgkmcnt(0)
	s_add_u32 s20, s0, 8
	v_mov_b32_e32 v97, v5
	v_mov_b32_e32 v6, v68
	s_addc_u32 s21, s1, 0
	s_mov_b64 s[22:23], 1
	v_mov_b32_e32 v96, v4
	v_mov_b32_e32 v7, v69
.LBB0_2:                                ; =>This Inner Loop Header: Depth=1
	s_load_dwordx2 s[24:25], s[20:21], 0x0
                                        ; implicit-def: $vgpr100_vgpr101
	s_waitcnt lgkmcnt(0)
	v_or_b32_e32 v2, s25, v7
	v_cmp_ne_u64_e32 vcc, 0, v[1:2]
	s_and_saveexec_b64 s[0:1], vcc
	s_xor_b64 s[26:27], exec, s[0:1]
	s_cbranch_execz .LBB0_4
; %bb.3:                                ;   in Loop: Header=BB0_2 Depth=1
	v_cvt_f32_u32_e32 v2, s24
	v_cvt_f32_u32_e32 v3, s25
	s_sub_u32 s0, 0, s24
	s_subb_u32 s1, 0, s25
	v_mac_f32_e32 v2, 0x4f800000, v3
	v_rcp_f32_e32 v2, v2
	v_mul_f32_e32 v2, 0x5f7ffffc, v2
	v_mul_f32_e32 v3, 0x2f800000, v2
	v_trunc_f32_e32 v3, v3
	v_mac_f32_e32 v2, 0xcf800000, v3
	v_cvt_u32_f32_e32 v3, v3
	v_cvt_u32_f32_e32 v2, v2
	v_mul_lo_u32 v8, s0, v3
	v_mul_hi_u32 v9, s0, v2
	v_mul_lo_u32 v11, s1, v2
	v_mul_lo_u32 v10, s0, v2
	v_add_u32_e32 v8, v9, v8
	v_add_u32_e32 v8, v8, v11
	v_mul_hi_u32 v9, v2, v10
	v_mul_lo_u32 v11, v2, v8
	v_mul_hi_u32 v13, v2, v8
	v_mul_hi_u32 v12, v3, v10
	v_mul_lo_u32 v10, v3, v10
	v_mul_hi_u32 v14, v3, v8
	v_add_co_u32_e32 v9, vcc, v9, v11
	v_addc_co_u32_e32 v11, vcc, 0, v13, vcc
	v_mul_lo_u32 v8, v3, v8
	v_add_co_u32_e32 v9, vcc, v9, v10
	v_addc_co_u32_e32 v9, vcc, v11, v12, vcc
	v_addc_co_u32_e32 v10, vcc, 0, v14, vcc
	v_add_co_u32_e32 v8, vcc, v9, v8
	v_addc_co_u32_e32 v9, vcc, 0, v10, vcc
	v_add_co_u32_e32 v2, vcc, v2, v8
	v_addc_co_u32_e32 v3, vcc, v3, v9, vcc
	v_mul_lo_u32 v8, s0, v3
	v_mul_hi_u32 v9, s0, v2
	v_mul_lo_u32 v10, s1, v2
	v_mul_lo_u32 v11, s0, v2
	v_add_u32_e32 v8, v9, v8
	v_add_u32_e32 v8, v8, v10
	v_mul_lo_u32 v12, v2, v8
	v_mul_hi_u32 v13, v2, v11
	v_mul_hi_u32 v14, v2, v8
	;; [unrolled: 1-line block ×3, first 2 shown]
	v_mul_lo_u32 v11, v3, v11
	v_mul_hi_u32 v9, v3, v8
	v_add_co_u32_e32 v12, vcc, v13, v12
	v_addc_co_u32_e32 v13, vcc, 0, v14, vcc
	v_mul_lo_u32 v8, v3, v8
	v_add_co_u32_e32 v11, vcc, v12, v11
	v_addc_co_u32_e32 v10, vcc, v13, v10, vcc
	v_addc_co_u32_e32 v9, vcc, 0, v9, vcc
	v_add_co_u32_e32 v8, vcc, v10, v8
	v_addc_co_u32_e32 v9, vcc, 0, v9, vcc
	v_add_co_u32_e32 v8, vcc, v2, v8
	v_addc_co_u32_e32 v9, vcc, v3, v9, vcc
	v_mad_u64_u32 v[2:3], s[0:1], v6, v9, 0
	v_mul_hi_u32 v10, v6, v8
	v_add_co_u32_e32 v10, vcc, v10, v2
	v_addc_co_u32_e32 v11, vcc, 0, v3, vcc
	v_mad_u64_u32 v[2:3], s[0:1], v7, v8, 0
	v_mad_u64_u32 v[8:9], s[0:1], v7, v9, 0
	v_add_co_u32_e32 v2, vcc, v10, v2
	v_addc_co_u32_e32 v2, vcc, v11, v3, vcc
	v_addc_co_u32_e32 v3, vcc, 0, v9, vcc
	v_add_co_u32_e32 v8, vcc, v2, v8
	v_addc_co_u32_e32 v9, vcc, 0, v3, vcc
	v_mul_lo_u32 v10, s25, v8
	v_mul_lo_u32 v11, s24, v9
	v_mad_u64_u32 v[2:3], s[0:1], s24, v8, 0
	v_add3_u32 v3, v3, v11, v10
	v_sub_u32_e32 v10, v7, v3
	v_mov_b32_e32 v11, s25
	v_sub_co_u32_e32 v2, vcc, v6, v2
	v_subb_co_u32_e64 v10, s[0:1], v10, v11, vcc
	v_subrev_co_u32_e64 v11, s[0:1], s24, v2
	v_subbrev_co_u32_e64 v10, s[0:1], 0, v10, s[0:1]
	v_cmp_le_u32_e64 s[0:1], s25, v10
	v_cndmask_b32_e64 v12, 0, -1, s[0:1]
	v_cmp_le_u32_e64 s[0:1], s24, v11
	v_cndmask_b32_e64 v11, 0, -1, s[0:1]
	v_cmp_eq_u32_e64 s[0:1], s25, v10
	v_cndmask_b32_e64 v10, v12, v11, s[0:1]
	v_add_co_u32_e64 v11, s[0:1], 2, v8
	v_addc_co_u32_e64 v12, s[0:1], 0, v9, s[0:1]
	v_add_co_u32_e64 v13, s[0:1], 1, v8
	v_addc_co_u32_e64 v14, s[0:1], 0, v9, s[0:1]
	v_subb_co_u32_e32 v3, vcc, v7, v3, vcc
	v_cmp_ne_u32_e64 s[0:1], 0, v10
	v_cmp_le_u32_e32 vcc, s25, v3
	v_cndmask_b32_e64 v10, v14, v12, s[0:1]
	v_cndmask_b32_e64 v12, 0, -1, vcc
	v_cmp_le_u32_e32 vcc, s24, v2
	v_cndmask_b32_e64 v2, 0, -1, vcc
	v_cmp_eq_u32_e32 vcc, s25, v3
	v_cndmask_b32_e32 v2, v12, v2, vcc
	v_cmp_ne_u32_e32 vcc, 0, v2
	v_cndmask_b32_e64 v2, v13, v11, s[0:1]
	v_cndmask_b32_e32 v101, v9, v10, vcc
	v_cndmask_b32_e32 v100, v8, v2, vcc
.LBB0_4:                                ;   in Loop: Header=BB0_2 Depth=1
	s_andn2_saveexec_b64 s[0:1], s[26:27]
	s_cbranch_execz .LBB0_6
; %bb.5:                                ;   in Loop: Header=BB0_2 Depth=1
	v_cvt_f32_u32_e32 v2, s24
	s_sub_i32 s26, 0, s24
	v_mov_b32_e32 v101, v1
	v_rcp_iflag_f32_e32 v2, v2
	v_mul_f32_e32 v2, 0x4f7ffffe, v2
	v_cvt_u32_f32_e32 v2, v2
	v_mul_lo_u32 v3, s26, v2
	v_mul_hi_u32 v3, v2, v3
	v_add_u32_e32 v2, v2, v3
	v_mul_hi_u32 v2, v6, v2
	v_mul_lo_u32 v3, v2, s24
	v_add_u32_e32 v8, 1, v2
	v_sub_u32_e32 v3, v6, v3
	v_subrev_u32_e32 v9, s24, v3
	v_cmp_le_u32_e32 vcc, s24, v3
	v_cndmask_b32_e32 v3, v3, v9, vcc
	v_cndmask_b32_e32 v2, v2, v8, vcc
	v_add_u32_e32 v8, 1, v2
	v_cmp_le_u32_e32 vcc, s24, v3
	v_cndmask_b32_e32 v100, v2, v8, vcc
.LBB0_6:                                ;   in Loop: Header=BB0_2 Depth=1
	s_or_b64 exec, exec, s[0:1]
	v_mul_lo_u32 v8, v101, s24
	v_mul_lo_u32 v9, v100, s25
	v_mad_u64_u32 v[2:3], s[0:1], v100, s24, 0
	s_load_dwordx2 s[0:1], s[6:7], 0x0
	s_load_dwordx2 s[24:25], s[2:3], 0x0
	v_add3_u32 v3, v3, v9, v8
	v_sub_co_u32_e32 v2, vcc, v6, v2
	v_subb_co_u32_e32 v3, vcc, v7, v3, vcc
	s_waitcnt lgkmcnt(0)
	v_mul_lo_u32 v6, s0, v3
	v_mul_lo_u32 v7, s1, v2
	v_mad_u64_u32 v[4:5], s[0:1], s0, v2, v[4:5]
	v_mul_lo_u32 v3, s24, v3
	v_mul_lo_u32 v8, s25, v2
	v_mad_u64_u32 v[96:97], s[0:1], s24, v2, v[96:97]
	s_add_u32 s22, s22, 1
	s_addc_u32 s23, s23, 0
	s_add_u32 s2, s2, 8
	v_add3_u32 v97, v8, v97, v3
	s_addc_u32 s3, s3, 0
	v_mov_b32_e32 v2, s10
	s_add_u32 s6, s6, 8
	v_mov_b32_e32 v3, s11
	s_addc_u32 s7, s7, 0
	v_cmp_ge_u64_e32 vcc, s[22:23], v[2:3]
	s_add_u32 s20, s20, 8
	v_add3_u32 v5, v7, v5, v6
	s_addc_u32 s21, s21, 0
	s_cbranch_vccnz .LBB0_8
; %bb.7:                                ;   in Loop: Header=BB0_2 Depth=1
	v_mov_b32_e32 v6, v100
	v_mov_b32_e32 v7, v101
	s_branch .LBB0_2
.LBB0_8:
	s_load_dwordx2 s[4:5], s[4:5], 0x28
	s_lshl_b64 s[6:7], s[10:11], 3
	s_add_u32 s2, s18, s6
	s_addc_u32 s3, s19, s7
                                        ; implicit-def: $vgpr98
	s_waitcnt lgkmcnt(0)
	v_cmp_gt_u64_e64 s[0:1], s[4:5], v[100:101]
	v_cmp_le_u64_e32 vcc, s[4:5], v[100:101]
	s_and_saveexec_b64 s[4:5], vcc
	s_xor_b64 s[4:5], exec, s[4:5]
; %bb.9:
	s_mov_b32 s10, 0x3c3c3c4
	v_mul_hi_u32 v1, v0, s10
                                        ; implicit-def: $vgpr4_vgpr5
	v_mul_u32_u24_e32 v1, 0x44, v1
	v_sub_u32_e32 v98, v0, v1
                                        ; implicit-def: $vgpr0
; %bb.10:
	s_or_saveexec_b64 s[4:5], s[4:5]
                                        ; implicit-def: $vgpr46_vgpr47
                                        ; implicit-def: $vgpr50_vgpr51
                                        ; implicit-def: $vgpr54_vgpr55
                                        ; implicit-def: $vgpr42_vgpr43
                                        ; implicit-def: $vgpr38_vgpr39
                                        ; implicit-def: $vgpr26_vgpr27
                                        ; implicit-def: $vgpr18_vgpr19
                                        ; implicit-def: $vgpr10_vgpr11
                                        ; implicit-def: $vgpr6_vgpr7
                                        ; implicit-def: $vgpr2_vgpr3
                                        ; implicit-def: $vgpr14_vgpr15
                                        ; implicit-def: $vgpr22_vgpr23
                                        ; implicit-def: $vgpr30_vgpr31
                                        ; implicit-def: $vgpr58_vgpr59
                                        ; implicit-def: $vgpr62_vgpr63
                                        ; implicit-def: $vgpr66_vgpr67
                                        ; implicit-def: $vgpr34_vgpr35
	s_xor_b64 exec, exec, s[4:5]
	s_cbranch_execz .LBB0_12
; %bb.11:
	s_add_u32 s6, s16, s6
	s_addc_u32 s7, s17, s7
	s_load_dwordx2 s[6:7], s[6:7], 0x0
	s_mov_b32 s10, 0x3c3c3c4
	v_mul_hi_u32 v3, v0, s10
	s_waitcnt lgkmcnt(0)
	v_mul_lo_u32 v6, s7, v100
	v_mul_lo_u32 v7, s6, v101
	v_mad_u64_u32 v[1:2], s[6:7], s6, v100, 0
	v_mul_u32_u24_e32 v3, 0x44, v3
	v_sub_u32_e32 v98, v0, v3
	v_add3_u32 v2, v2, v7, v6
	v_lshlrev_b64 v[0:1], 4, v[1:2]
	v_mov_b32_e32 v2, s13
	v_add_co_u32_e32 v3, vcc, s12, v0
	v_addc_co_u32_e32 v2, vcc, v2, v1, vcc
	v_lshlrev_b64 v[0:1], 4, v[4:5]
	s_movk_i32 s6, 0x1000
	v_add_co_u32_e32 v0, vcc, v3, v0
	v_addc_co_u32_e32 v1, vcc, v2, v1, vcc
	v_lshlrev_b32_e32 v2, 4, v98
	v_add_co_u32_e32 v4, vcc, v0, v2
	v_addc_co_u32_e32 v5, vcc, 0, v1, vcc
	v_add_co_u32_e32 v6, vcc, s6, v4
	v_addc_co_u32_e32 v7, vcc, 0, v5, vcc
	s_movk_i32 s6, 0x2000
	v_add_co_u32_e32 v69, vcc, s6, v4
	v_addc_co_u32_e32 v70, vcc, 0, v5, vcc
	s_movk_i32 s6, 0x3000
	v_add_co_u32_e32 v71, vcc, s6, v4
	v_addc_co_u32_e32 v72, vcc, 0, v5, vcc
	v_add_co_u32_e32 v73, vcc, 0x4000, v4
	global_load_dwordx4 v[32:35], v[4:5], off
	global_load_dwordx4 v[64:67], v[4:5], off offset:1088
	global_load_dwordx4 v[60:63], v[4:5], off offset:2176
	global_load_dwordx4 v[56:59], v[4:5], off offset:3264
	global_load_dwordx4 v[28:31], v[6:7], off offset:256
	global_load_dwordx4 v[20:23], v[6:7], off offset:1344
	global_load_dwordx4 v[12:15], v[6:7], off offset:2432
	global_load_dwordx4 v[0:3], v[6:7], off offset:3520
	v_addc_co_u32_e32 v74, vcc, 0, v5, vcc
	global_load_dwordx4 v[4:7], v[69:70], off offset:512
	global_load_dwordx4 v[8:11], v[69:70], off offset:1600
	;; [unrolled: 1-line block ×9, first 2 shown]
.LBB0_12:
	s_or_b64 exec, exec, s[4:5]
	s_waitcnt vmcnt(15)
	v_add_f64 v[69:70], v[64:65], v[32:33]
	s_waitcnt vmcnt(0)
	v_add_f64 v[71:72], v[44:45], v[64:65]
	s_mov_b32 s24, 0xaaaaaaab
	v_mul_hi_u32 v79, v68, s24
	s_mov_b32 s10, 0x370991
	s_mov_b32 s11, 0x3fedd6d0
	v_add_f64 v[73:74], v[66:67], -v[46:47]
	v_lshrrev_b32_e32 v79, 1, v79
	v_add_f64 v[69:70], v[60:61], v[69:70]
	v_lshl_add_u32 v79, v79, 1, v79
	v_add_f64 v[75:76], v[48:49], v[60:61]
	v_sub_u32_e32 v68, v68, v79
	v_mul_f64 v[79:80], v[71:72], s[10:11]
	s_load_dwordx2 s[4:5], s[2:3], 0x0
	s_mov_b32 s26, 0x5d8e7cdc
	s_mov_b32 s18, 0x75d4884
	v_add_f64 v[69:70], v[56:57], v[69:70]
	s_mov_b32 s2, 0x2b2883cd
	s_mov_b32 s6, 0x3259b75e
	;; [unrolled: 1-line block ×7, first 2 shown]
	v_add_f64 v[69:70], v[28:29], v[69:70]
	s_mov_b32 s19, 0x3fe7a5f6
	s_mov_b32 s3, 0x3fdc86fa
	;; [unrolled: 1-line block ×7, first 2 shown]
	v_add_f64 v[69:70], v[20:21], v[69:70]
	v_add_f64 v[77:78], v[62:63], -v[50:51]
	v_mul_f64 v[81:82], v[71:72], s[18:19]
	v_mul_f64 v[83:84], v[71:72], s[2:3]
	;; [unrolled: 1-line block ×6, first 2 shown]
	v_add_f64 v[69:70], v[12:13], v[69:70]
	v_mul_f64 v[71:72], v[71:72], s[40:41]
	v_mul_f64 v[93:94], v[75:76], s[18:19]
	v_fma_f64 v[106:107], v[73:74], s[26:27], v[79:80]
	s_mov_b32 s28, 0x2a9d6da3
	s_mov_b32 s20, 0x7c9e640b
	s_mov_b32 s12, 0xeb564b22
	s_mov_b32 s50, 0x923c349f
	v_add_f64 v[69:70], v[0:1], v[69:70]
	s_mov_b32 s46, 0x6c9a05f6
	s_mov_b32 s54, 0x4363dd80
	s_mov_b32 s56, 0xacd6c6b4
	s_mov_b32 s37, 0xbfd71e95
	s_mov_b32 s29, 0x3fe58eea
	s_mov_b32 s49, 0xbfe58eea
	s_mov_b32 s21, 0x3feca52d
	v_add_f64 v[69:70], v[4:5], v[69:70]
	s_mov_b32 s53, 0xbfeca52d
	s_mov_b32 s13, 0x3fefdd0d
	s_mov_b32 s45, 0xbfefdd0d
	;; [unrolled: 8-line block ×4, first 2 shown]
	s_mov_b32 s38, s54
	s_mov_b32 s42, s56
	v_mul_f64 v[102:103], v[75:76], s[6:7]
	v_fma_f64 v[79:80], v[73:74], s[36:37], v[79:80]
	v_add_f64 v[69:70], v[24:25], v[69:70]
	v_fma_f64 v[108:109], v[73:74], s[28:29], v[81:82]
	v_fma_f64 v[81:82], v[73:74], s[48:49], v[81:82]
	;; [unrolled: 1-line block ×7, first 2 shown]
	v_add_f64 v[69:70], v[36:37], v[69:70]
	v_fma_f64 v[87:88], v[73:74], s[24:25], v[87:88]
	v_fma_f64 v[116:117], v[73:74], s[46:47], v[89:90]
	;; [unrolled: 1-line block ×7, first 2 shown]
	v_add_f64 v[69:70], v[40:41], v[69:70]
	v_fma_f64 v[73:74], v[77:78], s[28:29], v[93:94]
	v_add_f64 v[106:107], v[32:33], v[106:107]
	v_mul_f64 v[104:105], v[75:76], s[22:23]
	v_fma_f64 v[93:94], v[77:78], s[48:49], v[93:94]
	v_fma_f64 v[122:123], v[77:78], s[12:13], v[102:103]
	v_add_f64 v[79:80], v[32:33], v[79:80]
	v_add_f64 v[108:109], v[32:33], v[108:109]
	v_add_f64 v[69:70], v[52:53], v[69:70]
	v_add_f64 v[81:82], v[32:33], v[81:82]
	v_add_f64 v[110:111], v[32:33], v[110:111]
	v_add_f64 v[83:84], v[32:33], v[83:84]
	v_add_f64 v[112:113], v[32:33], v[112:113]
	v_add_f64 v[85:86], v[32:33], v[85:86]
	v_add_f64 v[114:115], v[32:33], v[114:115]
	v_add_f64 v[87:88], v[32:33], v[87:88]
	v_add_f64 v[69:70], v[48:49], v[69:70]
	v_add_f64 v[116:117], v[32:33], v[116:117]
	v_add_f64 v[89:90], v[32:33], v[89:90]
	v_add_f64 v[118:119], v[32:33], v[118:119]
	v_add_f64 v[91:92], v[32:33], v[91:92]
	v_add_f64 v[120:121], v[32:33], v[120:121]
	v_add_f64 v[71:72], v[32:33], v[71:72]
	v_fma_f64 v[102:103], v[77:78], s[44:45], v[102:103]
	v_add_f64 v[32:33], v[44:45], v[69:70]
	v_mul_f64 v[69:70], v[75:76], s[40:41]
	v_add_f64 v[73:74], v[73:74], v[106:107]
	v_mul_f64 v[106:107], v[75:76], s[34:35]
	v_fma_f64 v[124:125], v[77:78], s[46:47], v[104:105]
	v_fma_f64 v[104:105], v[77:78], s[30:31], v[104:105]
	v_add_f64 v[79:80], v[93:94], v[79:80]
	v_add_f64 v[93:94], v[122:123], v[108:109]
	;; [unrolled: 1-line block ×3, first 2 shown]
	v_fma_f64 v[108:109], v[77:78], s[56:57], v[69:70]
	v_fma_f64 v[69:70], v[77:78], s[42:43], v[69:70]
	;; [unrolled: 1-line block ×4, first 2 shown]
	v_add_f64 v[83:84], v[104:105], v[83:84]
	v_mul_f64 v[104:105], v[75:76], s[16:17]
	v_add_f64 v[110:111], v[124:125], v[110:111]
	v_add_f64 v[122:123], v[58:59], -v[54:55]
	v_add_f64 v[108:109], v[108:109], v[112:113]
	v_mul_f64 v[112:113], v[75:76], s[2:3]
	v_add_f64 v[69:70], v[69:70], v[85:86]
	v_add_f64 v[85:86], v[102:103], v[114:115]
	;; [unrolled: 1-line block ×3, first 2 shown]
	v_mul_f64 v[75:76], v[75:76], s[10:11]
	v_fma_f64 v[114:115], v[77:78], s[24:25], v[104:105]
	v_fma_f64 v[104:105], v[77:78], s[50:51], v[104:105]
	v_add_f64 v[87:88], v[106:107], v[87:88]
	v_fma_f64 v[106:107], v[77:78], s[52:53], v[112:113]
	v_fma_f64 v[112:113], v[77:78], s[20:21], v[112:113]
	v_mul_u32_u24_e32 v68, 0x484, v68
	v_mul_f64 v[124:125], v[102:103], s[2:3]
	v_fma_f64 v[126:127], v[77:78], s[36:37], v[75:76]
	v_fma_f64 v[75:76], v[77:78], s[26:27], v[75:76]
	v_add_f64 v[77:78], v[104:105], v[89:90]
	v_mul_f64 v[89:90], v[102:103], s[22:23]
	v_add_f64 v[114:115], v[114:115], v[116:117]
	v_add_f64 v[104:105], v[106:107], v[118:119]
	v_mul_f64 v[116:117], v[102:103], s[40:41]
	v_fma_f64 v[106:107], v[122:123], s[20:21], v[124:125]
	v_add_f64 v[91:92], v[112:113], v[91:92]
	v_add_f64 v[112:113], v[126:127], v[120:121]
	;; [unrolled: 1-line block ×3, first 2 shown]
	v_fma_f64 v[75:76], v[122:123], s[52:53], v[124:125]
	v_fma_f64 v[118:119], v[122:123], s[46:47], v[89:90]
	v_mul_f64 v[120:121], v[102:103], s[16:17]
	v_fma_f64 v[89:90], v[122:123], s[30:31], v[89:90]
	v_add_f64 v[73:74], v[106:107], v[73:74]
	v_mul_f64 v[106:107], v[102:103], s[18:19]
	v_fma_f64 v[124:125], v[122:123], s[42:43], v[116:117]
	v_fma_f64 v[116:117], v[122:123], s[56:57], v[116:117]
	v_add_f64 v[75:76], v[75:76], v[79:80]
	v_add_f64 v[79:80], v[118:119], v[93:94]
	v_fma_f64 v[93:94], v[122:123], s[24:25], v[120:121]
	v_add_f64 v[81:82], v[89:90], v[81:82]
	v_fma_f64 v[89:90], v[122:123], s[50:51], v[120:121]
	v_fma_f64 v[118:119], v[122:123], s[48:49], v[106:107]
	v_fma_f64 v[106:107], v[122:123], s[28:29], v[106:107]
	v_add_f64 v[83:84], v[116:117], v[83:84]
	v_mul_f64 v[116:117], v[102:103], s[10:11]
	v_add_f64 v[110:111], v[124:125], v[110:111]
	v_add_f64 v[93:94], v[93:94], v[108:109]
	v_mul_f64 v[108:109], v[102:103], s[6:7]
	v_add_f64 v[69:70], v[89:90], v[69:70]
	;; [unrolled: 3-line block ×3, first 2 shown]
	v_fma_f64 v[106:107], v[122:123], s[36:37], v[116:117]
	v_add_f64 v[85:86], v[118:119], v[85:86]
	v_fma_f64 v[118:119], v[122:123], s[26:27], v[116:117]
	v_fma_f64 v[116:117], v[122:123], s[12:13], v[108:109]
	;; [unrolled: 1-line block ×3, first 2 shown]
	v_add_f64 v[120:121], v[30:31], -v[42:43]
	v_mul_f64 v[124:125], v[89:90], s[6:7]
	v_fma_f64 v[126:127], v[122:123], s[54:55], v[102:103]
	v_fma_f64 v[102:103], v[122:123], s[38:39], v[102:103]
	v_add_f64 v[77:78], v[106:107], v[77:78]
	v_mul_f64 v[106:107], v[89:90], s[40:41]
	v_add_f64 v[104:105], v[116:117], v[104:105]
	v_add_f64 v[91:92], v[108:109], v[91:92]
	v_mul_f64 v[116:117], v[89:90], s[16:17]
	v_fma_f64 v[108:109], v[120:121], s[12:13], v[124:125]
	v_add_f64 v[114:115], v[118:119], v[114:115]
	v_add_f64 v[71:72], v[102:103], v[71:72]
	v_fma_f64 v[102:103], v[120:121], s[44:45], v[124:125]
	v_fma_f64 v[118:119], v[120:121], s[56:57], v[106:107]
	v_mul_f64 v[122:123], v[89:90], s[10:11]
	v_fma_f64 v[106:107], v[120:121], s[42:43], v[106:107]
	v_fma_f64 v[124:125], v[120:121], s[24:25], v[116:117]
	v_add_f64 v[73:74], v[108:109], v[73:74]
	v_mul_f64 v[108:109], v[89:90], s[2:3]
	v_fma_f64 v[116:117], v[120:121], s[50:51], v[116:117]
	v_add_f64 v[75:76], v[102:103], v[75:76]
	v_add_f64 v[79:80], v[118:119], v[79:80]
	v_fma_f64 v[102:103], v[120:121], s[36:37], v[122:123]
	v_add_f64 v[81:82], v[106:107], v[81:82]
	v_fma_f64 v[106:107], v[120:121], s[26:27], v[122:123]
	;; [unrolled: 2-line block ×3, first 2 shown]
	v_add_f64 v[83:84], v[116:117], v[83:84]
	v_mul_f64 v[116:117], v[89:90], s[34:35]
	v_fma_f64 v[108:109], v[120:121], s[52:53], v[108:109]
	v_add_f64 v[93:94], v[102:103], v[93:94]
	v_mul_f64 v[102:103], v[89:90], s[22:23]
	v_add_f64 v[69:70], v[106:107], v[69:70]
	v_add_f64 v[106:107], v[36:37], v[20:21]
	v_mul_f64 v[89:90], v[89:90], s[18:19]
	v_add_f64 v[110:111], v[124:125], v[110:111]
	v_add_f64 v[85:86], v[118:119], v[85:86]
	;; [unrolled: 1-line block ×3, first 2 shown]
	v_fma_f64 v[108:109], v[120:121], s[38:39], v[116:117]
	v_fma_f64 v[118:119], v[120:121], s[54:55], v[116:117]
	;; [unrolled: 1-line block ×4, first 2 shown]
	v_add_f64 v[122:123], v[22:23], -v[38:39]
	v_mul_f64 v[124:125], v[106:107], s[16:17]
	v_fma_f64 v[126:127], v[120:121], s[48:49], v[89:90]
	v_fma_f64 v[89:90], v[120:121], s[28:29], v[89:90]
	v_add_f64 v[77:78], v[108:109], v[77:78]
	v_mul_f64 v[108:109], v[106:107], s[34:35]
	v_add_f64 v[104:105], v[116:117], v[104:105]
	v_add_f64 v[91:92], v[102:103], v[91:92]
	v_mul_f64 v[116:117], v[106:107], s[18:19]
	v_fma_f64 v[102:103], v[122:123], s[50:51], v[124:125]
	v_mul_f64 v[120:121], v[106:107], s[2:3]
	v_add_f64 v[71:72], v[89:90], v[71:72]
	v_fma_f64 v[89:90], v[122:123], s[24:25], v[124:125]
	v_add_f64 v[114:115], v[118:119], v[114:115]
	v_fma_f64 v[118:119], v[122:123], s[38:39], v[108:109]
	v_fma_f64 v[108:109], v[122:123], s[54:55], v[108:109]
	;; [unrolled: 1-line block ×3, first 2 shown]
	v_add_f64 v[73:74], v[102:103], v[73:74]
	v_mul_f64 v[102:103], v[106:107], s[40:41]
	v_fma_f64 v[116:117], v[122:123], s[28:29], v[116:117]
	v_add_f64 v[75:76], v[89:90], v[75:76]
	v_fma_f64 v[89:90], v[122:123], s[20:21], v[120:121]
	v_add_f64 v[79:80], v[118:119], v[79:80]
	v_add_f64 v[81:82], v[108:109], v[81:82]
	v_fma_f64 v[108:109], v[122:123], s[52:53], v[120:121]
	v_add_f64 v[112:113], v[126:127], v[112:113]
	v_fma_f64 v[118:119], v[122:123], s[56:57], v[102:103]
	v_add_f64 v[83:84], v[116:117], v[83:84]
	v_mul_f64 v[116:117], v[106:107], s[6:7]
	v_fma_f64 v[102:103], v[122:123], s[42:43], v[102:103]
	v_add_f64 v[89:90], v[89:90], v[93:94]
	v_mul_f64 v[93:94], v[106:107], s[10:11]
	v_add_f64 v[69:70], v[108:109], v[69:70]
	v_add_f64 v[108:109], v[24:25], v[12:13]
	v_mul_f64 v[106:107], v[106:107], s[22:23]
	v_add_f64 v[85:86], v[118:119], v[85:86]
	v_fma_f64 v[118:119], v[122:123], s[44:45], v[116:117]
	v_add_f64 v[87:88], v[102:103], v[87:88]
	v_fma_f64 v[102:103], v[122:123], s[12:13], v[116:117]
	v_fma_f64 v[116:117], v[122:123], s[26:27], v[93:94]
	v_add_f64 v[110:111], v[124:125], v[110:111]
	v_fma_f64 v[93:94], v[122:123], s[36:37], v[93:94]
	v_add_f64 v[120:121], v[14:15], -v[26:27]
	v_mul_f64 v[124:125], v[108:109], s[22:23]
	v_fma_f64 v[126:127], v[122:123], s[46:47], v[106:107]
	v_fma_f64 v[106:107], v[122:123], s[30:31], v[106:107]
	v_add_f64 v[77:78], v[102:103], v[77:78]
	v_add_f64 v[102:103], v[116:117], v[104:105]
	v_mul_f64 v[104:105], v[108:109], s[16:17]
	v_add_f64 v[114:115], v[118:119], v[114:115]
	v_add_f64 v[91:92], v[93:94], v[91:92]
	v_fma_f64 v[93:94], v[120:121], s[46:47], v[124:125]
	v_mul_f64 v[118:119], v[108:109], s[34:35]
	v_add_f64 v[71:72], v[106:107], v[71:72]
	v_fma_f64 v[106:107], v[120:121], s[30:31], v[124:125]
	v_mul_f64 v[116:117], v[108:109], s[10:11]
	v_fma_f64 v[122:123], v[120:121], s[24:25], v[104:105]
	v_fma_f64 v[104:105], v[120:121], s[50:51], v[104:105]
	v_add_f64 v[112:113], v[126:127], v[112:113]
	v_add_f64 v[73:74], v[93:94], v[73:74]
	v_mul_f64 v[93:94], v[108:109], s[6:7]
	s_movk_i32 s33, 0x88
	v_add_f64 v[75:76], v[106:107], v[75:76]
	v_fma_f64 v[106:107], v[120:121], s[54:55], v[118:119]
	v_fma_f64 v[124:125], v[120:121], s[26:27], v[116:117]
	v_add_f64 v[81:82], v[104:105], v[81:82]
	v_fma_f64 v[104:105], v[120:121], s[38:39], v[118:119]
	v_fma_f64 v[116:117], v[120:121], s[36:37], v[116:117]
	;; [unrolled: 1-line block ×4, first 2 shown]
	v_add_f64 v[79:80], v[122:123], v[79:80]
	v_add_f64 v[89:90], v[106:107], v[89:90]
	v_mul_f64 v[106:107], v[108:109], s[40:41]
	v_add_f64 v[110:111], v[124:125], v[110:111]
	v_add_f64 v[69:70], v[104:105], v[69:70]
	;; [unrolled: 1-line block ×4, first 2 shown]
	v_mul_f64 v[116:117], v[108:109], s[18:19]
	v_mul_f64 v[108:109], v[108:109], s[2:3]
	v_add_f64 v[87:88], v[93:94], v[87:88]
	v_fma_f64 v[93:94], v[120:121], s[56:57], v[106:107]
	v_fma_f64 v[106:107], v[120:121], s[42:43], v[106:107]
	v_add_f64 v[122:123], v[2:3], -v[18:19]
	v_mul_f64 v[124:125], v[104:105], s[34:35]
	v_add_f64 v[85:86], v[118:119], v[85:86]
	v_fma_f64 v[118:119], v[120:121], s[28:29], v[116:117]
	v_fma_f64 v[116:117], v[120:121], s[48:49], v[116:117]
	;; [unrolled: 1-line block ×4, first 2 shown]
	v_add_f64 v[93:94], v[93:94], v[102:103]
	v_mul_f64 v[102:103], v[104:105], s[2:3]
	v_add_f64 v[91:92], v[106:107], v[91:92]
	v_fma_f64 v[106:107], v[122:123], s[54:55], v[124:125]
	v_add_f64 v[114:115], v[118:119], v[114:115]
	v_add_f64 v[77:78], v[116:117], v[77:78]
	v_mul_f64 v[116:117], v[104:105], s[6:7]
	v_add_f64 v[71:72], v[108:109], v[71:72]
	v_mul_f64 v[108:109], v[104:105], s[22:23]
	v_fma_f64 v[120:121], v[122:123], s[52:53], v[102:103]
	v_fma_f64 v[102:103], v[122:123], s[20:21], v[102:103]
	;; [unrolled: 1-line block ×3, first 2 shown]
	v_add_f64 v[73:74], v[106:107], v[73:74]
	v_mul_f64 v[106:107], v[104:105], s[10:11]
	v_fma_f64 v[124:125], v[122:123], s[12:13], v[116:117]
	v_fma_f64 v[116:117], v[122:123], s[44:45], v[116:117]
	v_add_f64 v[112:113], v[126:127], v[112:113]
	v_add_f64 v[79:80], v[120:121], v[79:80]
	;; [unrolled: 1-line block ×3, first 2 shown]
	v_fma_f64 v[102:103], v[122:123], s[46:47], v[108:109]
	v_add_f64 v[75:76], v[118:119], v[75:76]
	v_fma_f64 v[118:119], v[122:123], s[30:31], v[108:109]
	v_fma_f64 v[108:109], v[122:123], s[26:27], v[106:107]
	v_mul_f64 v[120:121], v[104:105], s[40:41]
	v_add_f64 v[83:84], v[116:117], v[83:84]
	v_fma_f64 v[106:107], v[122:123], s[36:37], v[106:107]
	v_mul_f64 v[116:117], v[104:105], s[18:19]
	v_add_f64 v[69:70], v[102:103], v[69:70]
	v_add_f64 v[102:103], v[8:9], v[4:5]
	;; [unrolled: 1-line block ×4, first 2 shown]
	v_fma_f64 v[108:109], v[122:123], s[56:57], v[120:121]
	v_fma_f64 v[118:119], v[122:123], s[42:43], v[120:121]
	v_mul_f64 v[104:105], v[104:105], s[16:17]
	v_add_f64 v[110:111], v[124:125], v[110:111]
	v_add_f64 v[87:88], v[106:107], v[87:88]
	v_fma_f64 v[106:107], v[122:123], s[48:49], v[116:117]
	v_fma_f64 v[116:117], v[122:123], s[28:29], v[116:117]
	v_add_f64 v[120:121], v[6:7], -v[10:11]
	v_mul_f64 v[124:125], v[102:103], s[40:41]
	v_add_f64 v[108:109], v[108:109], v[114:115]
	v_add_f64 v[77:78], v[118:119], v[77:78]
	v_fma_f64 v[114:115], v[122:123], s[50:51], v[104:105]
	v_mul_f64 v[118:119], v[102:103], s[10:11]
	v_add_f64 v[93:94], v[106:107], v[93:94]
	v_add_f64 v[91:92], v[116:117], v[91:92]
	v_fma_f64 v[104:105], v[122:123], s[24:25], v[104:105]
	v_fma_f64 v[106:107], v[120:121], s[56:57], v[124:125]
	v_mul_f64 v[116:117], v[102:103], s[34:35]
	v_fma_f64 v[122:123], v[120:121], s[42:43], v[124:125]
	v_add_f64 v[112:113], v[114:115], v[112:113]
	v_fma_f64 v[114:115], v[120:121], s[36:37], v[118:119]
	v_mul_f64 v[124:125], v[102:103], s[18:19]
	v_fma_f64 v[118:119], v[120:121], s[26:27], v[118:119]
	v_add_f64 v[71:72], v[104:105], v[71:72]
	v_add_f64 v[73:74], v[106:107], v[73:74]
	v_fma_f64 v[126:127], v[120:121], s[54:55], v[116:117]
	v_add_f64 v[105:106], v[122:123], v[75:76]
	v_fma_f64 v[75:76], v[120:121], s[38:39], v[116:117]
	;; [unrolled: 2-line block ×3, first 2 shown]
	v_add_f64 v[81:82], v[118:119], v[81:82]
	v_mul_f64 v[118:119], v[102:103], s[22:23]
	v_fma_f64 v[116:117], v[120:121], s[28:29], v[124:125]
	v_mul_f64 v[122:123], v[102:103], s[2:3]
	v_add_f64 v[110:111], v[126:127], v[110:111]
	v_add_f64 v[75:76], v[75:76], v[83:84]
	v_mul_f64 v[83:84], v[102:103], s[16:17]
	v_mul_f64 v[102:103], v[102:103], s[6:7]
	v_add_f64 v[89:90], v[114:115], v[89:90]
	v_fma_f64 v[114:115], v[120:121], s[46:47], v[118:119]
	v_add_f64 v[69:70], v[116:117], v[69:70]
	v_fma_f64 v[116:117], v[120:121], s[30:31], v[118:119]
	v_fma_f64 v[118:119], v[120:121], s[52:53], v[122:123]
	;; [unrolled: 1-line block ×7, first 2 shown]
	v_add_f64 v[85:86], v[114:115], v[85:86]
	v_add_f64 v[87:88], v[116:117], v[87:88]
	;; [unrolled: 1-line block ×8, first 2 shown]
	v_lshlrev_b32_e32 v122, 3, v68
	v_add_u32_e32 v68, 0, v122
	v_mad_u32_u24 v102, v98, s33, v68
	ds_write2_b64 v102, v[32:33], v[73:74] offset1:1
	ds_write2_b64 v102, v[79:80], v[110:111] offset0:2 offset1:3
	ds_write2_b64 v102, v[89:90], v[85:86] offset0:4 offset1:5
	;; [unrolled: 1-line block ×7, first 2 shown]
	ds_write_b64 v102, v[105:106] offset:128
	v_lshlrev_b32_e32 v32, 3, v98
	v_add3_u32 v99, 0, v32, v122
	v_add_u32_e32 v121, v68, v32
	v_add_u32_e32 v32, 0xc00, v99
	;; [unrolled: 1-line block ×6, first 2 shown]
	s_waitcnt lgkmcnt(0)
	s_barrier
	ds_read2_b64 v[68:71], v32 offset0:92 offset1:194
	ds_read2_b64 v[84:87], v99 offset0:68 offset1:136
	ds_read2_b64 v[72:75], v33 offset0:134 offset1:202
	ds_read2_b64 v[88:91], v103 offset0:76 offset1:144
	ds_read2_b64 v[80:83], v104 offset0:14 offset1:82
	ds_read2_b64 v[92:95], v115 offset0:84 offset1:152
	ds_read2_b64 v[76:79], v104 offset0:150 offset1:218
	ds_read_b64 v[111:112], v121
	ds_read_b64 v[107:108], v99 offset:8432
	v_cmp_gt_u32_e32 vcc, 34, v98
                                        ; implicit-def: $vgpr109_vgpr110
	s_and_saveexec_b64 s[58:59], vcc
	s_cbranch_execz .LBB0_14
; %bb.13:
	ds_read_b64 v[105:106], v99 offset:4352
	ds_read_b64 v[109:110], v99 offset:8976
.LBB0_14:
	s_or_b64 exec, exec, s[58:59]
	v_add_f64 v[113:114], v[66:67], v[34:35]
	v_add_f64 v[52:53], v[56:57], -v[52:53]
	v_add_f64 v[44:45], v[64:65], -v[44:45]
	v_add_f64 v[64:65], v[46:47], v[66:67]
	v_add_f64 v[66:67], v[50:51], v[62:63]
	v_add_f64 v[48:49], v[60:61], -v[48:49]
	v_add_f64 v[60:61], v[54:55], v[58:59]
	v_add_f64 v[28:29], v[28:29], -v[40:41]
	v_add_f64 v[56:57], v[62:63], v[113:114]
	v_mul_f64 v[141:142], v[52:53], s[52:53]
	v_mul_f64 v[62:63], v[44:45], s[36:37]
	;; [unrolled: 1-line block ×7, first 2 shown]
	v_add_f64 v[56:57], v[58:59], v[56:57]
	v_mul_f64 v[127:128], v[44:45], s[38:39]
	v_mul_f64 v[44:45], v[44:45], s[42:43]
	v_fma_f64 v[151:152], v[64:65], s[10:11], v[62:63]
	v_fma_f64 v[62:63], v[64:65], s[10:11], -v[62:63]
	v_fma_f64 v[153:154], v[64:65], s[18:19], v[113:114]
	v_fma_f64 v[113:114], v[64:65], s[18:19], -v[113:114]
	v_fma_f64 v[155:156], v[64:65], s[2:3], v[116:117]
	v_add_f64 v[56:57], v[30:31], v[56:57]
	v_fma_f64 v[116:117], v[64:65], s[2:3], -v[116:117]
	v_fma_f64 v[157:158], v[64:65], s[6:7], v[118:119]
	v_fma_f64 v[118:119], v[64:65], s[6:7], -v[118:119]
	v_fma_f64 v[159:160], v[64:65], s[16:17], v[123:124]
	;; [unrolled: 2-line block ×3, first 2 shown]
	v_fma_f64 v[125:126], v[64:65], s[22:23], -v[125:126]
	v_add_f64 v[56:57], v[22:23], v[56:57]
	v_fma_f64 v[163:164], v[64:65], s[34:35], v[127:128]
	v_fma_f64 v[127:128], v[64:65], s[34:35], -v[127:128]
	v_fma_f64 v[165:166], v[64:65], s[40:41], v[44:45]
	v_fma_f64 v[44:45], v[64:65], s[40:41], -v[44:45]
	v_mul_f64 v[58:59], v[48:49], s[48:49]
	v_mul_f64 v[129:130], v[48:49], s[44:45]
	;; [unrolled: 1-line block ×3, first 2 shown]
	v_add_f64 v[56:57], v[14:15], v[56:57]
	v_mul_f64 v[133:134], v[48:49], s[42:43]
	v_add_f64 v[151:152], v[34:35], v[151:152]
	v_add_f64 v[62:63], v[34:35], v[62:63]
	;; [unrolled: 1-line block ×18, first 2 shown]
	v_mul_f64 v[135:136], v[48:49], s[54:55]
	v_mul_f64 v[137:138], v[48:49], s[50:51]
	;; [unrolled: 1-line block ×4, first 2 shown]
	v_add_f64 v[56:57], v[10:11], v[56:57]
	v_mul_f64 v[143:144], v[52:53], s[30:31]
	v_mul_f64 v[145:146], v[52:53], s[56:57]
	;; [unrolled: 1-line block ×3, first 2 shown]
	v_fma_f64 v[64:65], v[66:67], s[18:19], v[58:59]
	v_fma_f64 v[58:59], v[66:67], s[18:19], -v[58:59]
	v_fma_f64 v[167:168], v[66:67], s[6:7], v[129:130]
	v_fma_f64 v[129:130], v[66:67], s[6:7], -v[129:130]
	v_add_f64 v[56:57], v[18:19], v[56:57]
	v_fma_f64 v[169:170], v[66:67], s[22:23], v[131:132]
	v_fma_f64 v[131:132], v[66:67], s[22:23], -v[131:132]
	v_fma_f64 v[171:172], v[66:67], s[40:41], v[133:134]
	v_mul_f64 v[149:150], v[52:53], s[28:29]
	v_fma_f64 v[133:134], v[66:67], s[40:41], -v[133:134]
	v_fma_f64 v[173:174], v[66:67], s[34:35], v[135:136]
	v_fma_f64 v[135:136], v[66:67], s[34:35], -v[135:136]
	v_add_f64 v[56:57], v[26:27], v[56:57]
	v_fma_f64 v[175:176], v[66:67], s[16:17], v[137:138]
	v_fma_f64 v[137:138], v[66:67], s[16:17], -v[137:138]
	v_fma_f64 v[177:178], v[66:67], s[2:3], v[139:140]
	v_fma_f64 v[139:140], v[66:67], s[2:3], -v[139:140]
	;; [unrolled: 2-line block ×3, first 2 shown]
	v_fma_f64 v[66:67], v[60:61], s[2:3], v[141:142]
	v_add_f64 v[56:57], v[38:39], v[56:57]
	v_fma_f64 v[141:142], v[60:61], s[2:3], -v[141:142]
	v_fma_f64 v[181:182], v[60:61], s[22:23], v[143:144]
	v_fma_f64 v[143:144], v[60:61], s[22:23], -v[143:144]
	v_fma_f64 v[183:184], v[60:61], s[40:41], v[145:146]
	;; [unrolled: 2-line block ×3, first 2 shown]
	v_add_f64 v[58:59], v[58:59], v[62:63]
	v_add_f64 v[44:45], v[42:43], v[56:57]
	v_add_f64 v[56:57], v[64:65], v[151:152]
	v_add_f64 v[62:63], v[167:168], v[153:154]
	v_add_f64 v[64:65], v[129:130], v[113:114]
	v_add_f64 v[113:114], v[169:170], v[155:156]
	v_add_f64 v[116:117], v[131:132], v[116:117]
	v_add_f64 v[129:130], v[171:172], v[157:158]
	v_add_f64 v[123:124], v[135:136], v[123:124]
	v_add_f64 v[44:45], v[54:55], v[44:45]
	v_add_f64 v[34:35], v[48:49], v[34:35]
	v_add_f64 v[48:49], v[66:67], v[56:57]
	v_add_f64 v[56:57], v[141:142], v[58:59]
	v_add_f64 v[58:59], v[181:182], v[62:63]
	v_add_f64 v[62:63], v[143:144], v[64:65]
	v_add_f64 v[64:65], v[183:184], v[113:114]
	v_mul_f64 v[66:67], v[52:53], s[36:37]
	v_add_f64 v[44:45], v[50:51], v[44:45]
	v_fma_f64 v[113:114], v[60:61], s[18:19], -v[149:150]
	v_mul_f64 v[40:41], v[52:53], s[38:39]
	v_add_f64 v[131:132], v[175:176], v[161:162]
	v_add_f64 v[125:126], v[137:138], v[125:126]
	;; [unrolled: 1-line block ×4, first 2 shown]
	v_mul_f64 v[42:43], v[28:29], s[44:45]
	v_add_f64 v[44:45], v[46:47], v[44:45]
	v_add_f64 v[46:47], v[145:146], v[116:117]
	;; [unrolled: 1-line block ×3, first 2 shown]
	v_mul_f64 v[129:130], v[52:53], s[44:45]
	v_fma_f64 v[52:53], v[60:61], s[10:11], v[66:67]
	v_add_f64 v[113:114], v[113:114], v[123:124]
	v_fma_f64 v[66:67], v[60:61], s[10:11], -v[66:67]
	v_fma_f64 v[135:136], v[60:61], s[34:35], v[40:41]
	v_fma_f64 v[40:41], v[60:61], s[34:35], -v[40:41]
	v_fma_f64 v[147:148], v[60:61], s[16:17], -v[147:148]
	v_fma_f64 v[187:188], v[60:61], s[18:19], v[149:150]
	v_fma_f64 v[123:124], v[60:61], s[6:7], v[129:130]
	v_fma_f64 v[129:130], v[60:61], s[6:7], -v[129:130]
	v_add_f64 v[54:55], v[133:134], v[118:119]
	v_add_f64 v[133:134], v[177:178], v[163:164]
	;; [unrolled: 1-line block ×4, first 2 shown]
	v_mul_f64 v[66:67], v[28:29], s[42:43]
	v_add_f64 v[34:35], v[40:41], v[34:35]
	v_fma_f64 v[40:41], v[30:31], s[6:7], -v[42:43]
	v_add_f64 v[125:126], v[129:130], v[127:128]
	v_fma_f64 v[127:128], v[30:31], s[6:7], v[42:43]
	v_mul_f64 v[129:130], v[28:29], s[50:51]
	v_mul_f64 v[131:132], v[28:29], s[26:27]
	v_add_f64 v[118:119], v[173:174], v[159:160]
	v_add_f64 v[123:124], v[123:124], v[133:134]
	v_fma_f64 v[42:43], v[30:31], s[40:41], v[66:67]
	v_fma_f64 v[66:67], v[30:31], s[40:41], -v[66:67]
	v_add_f64 v[40:41], v[40:41], v[56:57]
	v_add_f64 v[48:49], v[127:128], v[48:49]
	v_mul_f64 v[127:128], v[28:29], s[52:53]
	v_fma_f64 v[133:134], v[30:31], s[16:17], v[129:130]
	v_fma_f64 v[129:130], v[30:31], s[16:17], -v[129:130]
	v_fma_f64 v[56:57], v[30:31], s[10:11], v[131:132]
	v_add_f64 v[54:55], v[147:148], v[54:55]
	v_add_f64 v[118:119], v[187:188], v[118:119]
	;; [unrolled: 1-line block ×4, first 2 shown]
	v_fma_f64 v[62:63], v[30:31], s[10:11], -v[131:132]
	v_fma_f64 v[66:67], v[30:31], s[2:3], v[127:128]
	v_add_f64 v[46:47], v[129:130], v[46:47]
	v_mul_f64 v[129:130], v[28:29], s[38:39]
	v_fma_f64 v[127:128], v[30:31], s[2:3], -v[127:128]
	v_add_f64 v[56:57], v[56:57], v[116:117]
	v_mul_f64 v[116:117], v[28:29], s[46:47]
	v_add_f64 v[20:21], v[20:21], -v[36:37]
	v_mul_f64 v[28:29], v[28:29], s[28:29]
	v_add_f64 v[54:55], v[62:63], v[54:55]
	v_add_f64 v[62:63], v[66:67], v[118:119]
	v_fma_f64 v[36:37], v[30:31], s[34:35], v[129:130]
	v_add_f64 v[66:67], v[127:128], v[113:114]
	v_fma_f64 v[113:114], v[30:31], s[34:35], -v[129:130]
	v_fma_f64 v[118:119], v[30:31], s[22:23], v[116:117]
	v_fma_f64 v[116:117], v[30:31], s[22:23], -v[116:117]
	v_add_f64 v[22:23], v[38:39], v[22:23]
	v_mul_f64 v[38:39], v[20:21], s[24:25]
	v_fma_f64 v[127:128], v[30:31], s[18:19], v[28:29]
	v_fma_f64 v[28:29], v[30:31], s[18:19], -v[28:29]
	v_add_f64 v[36:37], v[36:37], v[52:53]
	v_add_f64 v[30:31], v[113:114], v[60:61]
	v_mul_f64 v[52:53], v[20:21], s[54:55]
	v_add_f64 v[60:61], v[118:119], v[123:124]
	v_add_f64 v[113:114], v[116:117], v[125:126]
	v_fma_f64 v[116:117], v[22:23], s[16:17], v[38:39]
	v_mul_f64 v[118:119], v[20:21], s[28:29]
	v_add_f64 v[28:29], v[28:29], v[34:35]
	v_fma_f64 v[34:35], v[22:23], s[16:17], -v[38:39]
	v_mul_f64 v[123:124], v[20:21], s[52:53]
	v_fma_f64 v[38:39], v[22:23], s[34:35], v[52:53]
	v_fma_f64 v[52:53], v[22:23], s[34:35], -v[52:53]
	v_add_f64 v[12:13], v[12:13], -v[24:25]
	v_add_f64 v[48:49], v[116:117], v[48:49]
	v_mul_f64 v[116:117], v[20:21], s[42:43]
	v_fma_f64 v[125:126], v[22:23], s[18:19], v[118:119]
	v_fma_f64 v[118:119], v[22:23], s[18:19], -v[118:119]
	v_add_f64 v[34:35], v[34:35], v[40:41]
	v_fma_f64 v[40:41], v[22:23], s[2:3], v[123:124]
	v_add_f64 v[38:39], v[38:39], v[42:43]
	v_add_f64 v[42:43], v[52:53], v[58:59]
	v_fma_f64 v[52:53], v[22:23], s[2:3], -v[123:124]
	v_fma_f64 v[58:59], v[22:23], s[40:41], v[116:117]
	v_fma_f64 v[116:117], v[22:23], s[40:41], -v[116:117]
	v_add_f64 v[46:47], v[118:119], v[46:47]
	v_mul_f64 v[118:119], v[20:21], s[12:13]
	v_add_f64 v[40:41], v[40:41], v[56:57]
	v_mul_f64 v[56:57], v[20:21], s[36:37]
	v_mul_f64 v[20:21], v[20:21], s[30:31]
	v_add_f64 v[52:53], v[52:53], v[54:55]
	v_add_f64 v[54:55], v[58:59], v[62:63]
	;; [unrolled: 1-line block ×4, first 2 shown]
	v_fma_f64 v[24:25], v[22:23], s[6:7], v[118:119]
	v_fma_f64 v[62:63], v[22:23], s[6:7], -v[118:119]
	v_fma_f64 v[66:67], v[22:23], s[10:11], v[56:57]
	v_mul_f64 v[26:27], v[12:13], s[30:31]
	v_fma_f64 v[116:117], v[22:23], s[22:23], v[20:21]
	v_fma_f64 v[20:21], v[22:23], s[22:23], -v[20:21]
	v_fma_f64 v[56:57], v[22:23], s[10:11], -v[56:57]
	v_add_f64 v[0:1], v[0:1], -v[16:17]
	v_add_f64 v[24:25], v[24:25], v[36:37]
	v_add_f64 v[22:23], v[62:63], v[30:31]
	;; [unrolled: 1-line block ×3, first 2 shown]
	v_mul_f64 v[36:37], v[12:13], s[50:51]
	v_fma_f64 v[60:61], v[14:15], s[22:23], v[26:27]
	v_mul_f64 v[62:63], v[12:13], s[36:37]
	v_add_f64 v[20:21], v[20:21], v[28:29]
	v_fma_f64 v[26:27], v[14:15], s[22:23], -v[26:27]
	v_mul_f64 v[28:29], v[12:13], s[38:39]
	v_add_f64 v[56:57], v[56:57], v[113:114]
	v_add_f64 v[64:65], v[133:134], v[64:65]
	v_fma_f64 v[66:67], v[14:15], s[16:17], v[36:37]
	v_fma_f64 v[36:37], v[14:15], s[16:17], -v[36:37]
	v_add_f64 v[48:49], v[60:61], v[48:49]
	v_mul_f64 v[60:61], v[12:13], s[12:13]
	v_fma_f64 v[113:114], v[14:15], s[10:11], v[62:63]
	v_fma_f64 v[62:63], v[14:15], s[10:11], -v[62:63]
	v_add_f64 v[26:27], v[26:27], v[34:35]
	v_fma_f64 v[34:35], v[14:15], s[34:35], v[28:29]
	v_fma_f64 v[28:29], v[14:15], s[34:35], -v[28:29]
	v_add_f64 v[36:37], v[36:37], v[42:43]
	v_add_f64 v[2:3], v[18:19], v[2:3]
	v_fma_f64 v[42:43], v[14:15], s[6:7], v[60:61]
	v_mul_f64 v[18:19], v[0:1], s[38:39]
	v_add_f64 v[46:47], v[62:63], v[46:47]
	v_mul_f64 v[62:63], v[12:13], s[48:49]
	v_add_f64 v[34:35], v[34:35], v[40:41]
	v_fma_f64 v[40:41], v[14:15], s[6:7], -v[60:61]
	v_mul_f64 v[60:61], v[12:13], s[42:43]
	v_add_f64 v[28:29], v[28:29], v[52:53]
	v_add_f64 v[42:43], v[42:43], v[54:55]
	v_mul_f64 v[12:13], v[12:13], s[20:21]
	v_add_f64 v[50:51], v[179:180], v[165:166]
	v_fma_f64 v[16:17], v[14:15], s[18:19], v[62:63]
	v_fma_f64 v[52:53], v[14:15], s[18:19], -v[62:63]
	v_add_f64 v[64:65], v[125:126], v[64:65]
	v_fma_f64 v[54:55], v[14:15], s[40:41], v[60:61]
	v_add_f64 v[40:41], v[40:41], v[58:59]
	v_fma_f64 v[58:59], v[14:15], s[40:41], -v[60:61]
	v_fma_f64 v[60:61], v[14:15], s[2:3], v[12:13]
	v_fma_f64 v[12:13], v[14:15], s[2:3], -v[12:13]
	v_add_f64 v[16:17], v[16:17], v[24:25]
	v_add_f64 v[22:23], v[52:53], v[22:23]
	v_mul_f64 v[24:25], v[0:1], s[20:21]
	v_add_f64 v[14:15], v[54:55], v[30:31]
	v_fma_f64 v[52:53], v[2:3], s[34:35], v[18:19]
	v_mul_f64 v[54:55], v[0:1], s[44:45]
	v_fma_f64 v[18:19], v[2:3], s[34:35], -v[18:19]
	v_add_f64 v[50:51], v[135:136], v[50:51]
	v_add_f64 v[38:39], v[66:67], v[38:39]
	;; [unrolled: 1-line block ×5, first 2 shown]
	v_mul_f64 v[20:21], v[0:1], s[46:47]
	v_fma_f64 v[56:57], v[2:3], s[2:3], v[24:25]
	v_fma_f64 v[24:25], v[2:3], s[2:3], -v[24:25]
	v_add_f64 v[48:49], v[52:53], v[48:49]
	v_mul_f64 v[52:53], v[0:1], s[36:37]
	v_fma_f64 v[58:59], v[2:3], s[6:7], v[54:55]
	v_add_f64 v[18:19], v[18:19], v[26:27]
	v_fma_f64 v[26:27], v[2:3], s[6:7], -v[54:55]
	v_add_f64 v[50:51], v[127:128], v[50:51]
	v_fma_f64 v[54:55], v[2:3], s[22:23], v[20:21]
	v_add_f64 v[38:39], v[56:57], v[38:39]
	v_add_f64 v[24:25], v[24:25], v[36:37]
	v_fma_f64 v[20:21], v[2:3], s[22:23], -v[20:21]
	v_fma_f64 v[36:37], v[2:3], s[10:11], v[52:53]
	v_add_f64 v[56:57], v[58:59], v[64:65]
	v_mul_f64 v[58:59], v[0:1], s[42:43]
	v_add_f64 v[26:27], v[26:27], v[46:47]
	v_fma_f64 v[46:47], v[2:3], s[10:11], -v[52:53]
	v_mul_f64 v[52:53], v[0:1], s[28:29]
	v_add_f64 v[4:5], v[4:5], -v[8:9]
	v_add_f64 v[50:51], v[116:117], v[50:51]
	v_add_f64 v[20:21], v[20:21], v[28:29]
	;; [unrolled: 1-line block ×3, first 2 shown]
	v_fma_f64 v[8:9], v[2:3], s[40:41], v[58:59]
	v_fma_f64 v[36:37], v[2:3], s[40:41], -v[58:59]
	v_mul_f64 v[0:1], v[0:1], s[24:25]
	v_fma_f64 v[42:43], v[2:3], s[18:19], v[52:53]
	v_add_f64 v[6:7], v[10:11], v[6:7]
	v_mul_f64 v[10:11], v[4:5], s[42:43]
	v_add_f64 v[50:51], v[60:61], v[50:51]
	v_add_f64 v[40:41], v[46:47], v[40:41]
	v_fma_f64 v[46:47], v[2:3], s[18:19], -v[52:53]
	v_add_f64 v[8:9], v[8:9], v[16:17]
	v_add_f64 v[16:17], v[36:37], v[22:23]
	v_fma_f64 v[22:23], v[2:3], s[16:17], v[0:1]
	v_mul_f64 v[36:37], v[4:5], s[26:27]
	v_add_f64 v[14:15], v[42:43], v[14:15]
	v_fma_f64 v[0:1], v[2:3], s[16:17], -v[0:1]
	v_fma_f64 v[2:3], v[6:7], s[40:41], v[10:11]
	v_mul_f64 v[42:43], v[4:5], s[38:39]
	v_fma_f64 v[10:11], v[6:7], s[40:41], -v[10:11]
	v_add_f64 v[30:31], v[46:47], v[30:31]
	v_add_f64 v[22:23], v[22:23], v[50:51]
	v_fma_f64 v[46:47], v[6:7], s[10:11], v[36:37]
	v_mul_f64 v[50:51], v[4:5], s[28:29]
	v_fma_f64 v[36:37], v[6:7], s[10:11], -v[36:37]
	v_add_f64 v[0:1], v[0:1], v[12:13]
	v_fma_f64 v[12:13], v[6:7], s[34:35], v[42:43]
	v_add_f64 v[113:114], v[10:11], v[18:19]
	v_fma_f64 v[10:11], v[6:7], s[34:35], -v[42:43]
	v_mul_f64 v[42:43], v[4:5], s[30:31]
	v_add_f64 v[34:35], v[54:55], v[34:35]
	v_add_f64 v[18:19], v[46:47], v[38:39]
	;; [unrolled: 1-line block ×3, first 2 shown]
	v_fma_f64 v[36:37], v[6:7], s[18:19], -v[50:51]
	v_fma_f64 v[38:39], v[6:7], s[18:19], v[50:51]
	v_mul_f64 v[46:47], v[4:5], s[20:21]
	v_add_f64 v[10:11], v[10:11], v[26:27]
	v_mul_f64 v[26:27], v[4:5], s[24:25]
	v_mul_f64 v[4:5], v[4:5], s[12:13]
	v_add_f64 v[2:3], v[2:3], v[48:49]
	v_add_f64 v[12:13], v[12:13], v[56:57]
	;; [unrolled: 1-line block ×3, first 2 shown]
	v_fma_f64 v[36:37], v[6:7], s[22:23], v[42:43]
	v_add_f64 v[34:35], v[38:39], v[34:35]
	v_fma_f64 v[38:39], v[6:7], s[22:23], -v[42:43]
	v_fma_f64 v[42:43], v[6:7], s[2:3], v[46:47]
	v_fma_f64 v[48:49], v[6:7], s[16:17], v[26:27]
	;; [unrolled: 1-line block ×3, first 2 shown]
	v_fma_f64 v[4:5], v[6:7], s[6:7], -v[4:5]
	v_fma_f64 v[46:47], v[6:7], s[2:3], -v[46:47]
	;; [unrolled: 1-line block ×3, first 2 shown]
	v_add_f64 v[6:7], v[36:37], v[28:29]
	v_add_f64 v[28:29], v[38:39], v[40:41]
	;; [unrolled: 1-line block ×8, first 2 shown]
	s_waitcnt lgkmcnt(0)
	s_barrier
	ds_write2_b64 v102, v[44:45], v[2:3] offset1:1
	ds_write2_b64 v102, v[18:19], v[12:13] offset0:2 offset1:3
	ds_write2_b64 v102, v[34:35], v[6:7] offset0:4 offset1:5
	;; [unrolled: 1-line block ×7, first 2 shown]
	ds_write_b64 v102, v[113:114] offset:128
	s_waitcnt lgkmcnt(0)
	s_barrier
	ds_read2_b64 v[0:3], v32 offset0:92 offset1:194
	ds_read2_b64 v[4:7], v99 offset0:68 offset1:136
	;; [unrolled: 1-line block ×7, first 2 shown]
	ds_read_b64 v[115:116], v121
	ds_read_b64 v[117:118], v99 offset:8432
                                        ; implicit-def: $vgpr119_vgpr120
	s_and_saveexec_b64 s[2:3], vcc
	s_cbranch_execz .LBB0_16
; %bb.15:
	ds_read_b64 v[113:114], v99 offset:4352
	ds_read_b64 v[119:120], v99 offset:8976
.LBB0_16:
	s_or_b64 exec, exec, s[2:3]
	s_movk_i32 s2, 0xf1
	v_mul_lo_u16_sdwa v28, v98, s2 dst_sel:DWORD dst_unused:UNUSED_PAD src0_sel:BYTE_0 src1_sel:DWORD
	v_lshrrev_b16_e32 v66, 12, v28
	v_mul_lo_u16_e32 v28, 17, v66
	v_sub_u16_e32 v67, v98, v28
	v_add_u16_e32 v28, 0x44, v98
	v_mul_lo_u16_sdwa v29, v28, s2 dst_sel:DWORD dst_unused:UNUSED_PAD src0_sel:BYTE_0 src1_sel:DWORD
	v_lshrrev_b16_e32 v123, 12, v29
	v_mov_b32_e32 v37, 4
	v_mul_lo_u16_e32 v29, 17, v123
	v_lshlrev_b32_sdwa v38, v37, v67 dst_sel:DWORD dst_unused:UNUSED_PAD src0_sel:DWORD src1_sel:BYTE_0
	v_sub_u16_e32 v124, v28, v29
	v_lshlrev_b32_sdwa v39, v37, v124 dst_sel:DWORD dst_unused:UNUSED_PAD src0_sel:DWORD src1_sel:BYTE_0
	global_load_dwordx4 v[32:35], v38, s[8:9]
	global_load_dwordx4 v[28:31], v39, s[8:9]
	v_add_u16_e32 v38, 0x88, v98
	v_mul_lo_u16_sdwa v39, v38, s2 dst_sel:DWORD dst_unused:UNUSED_PAD src0_sel:BYTE_0 src1_sel:DWORD
	v_lshrrev_b16_e32 v125, 12, v39
	v_mul_lo_u16_e32 v39, 17, v125
	v_add_u32_e32 v36, 0xcc, v98
	v_sub_u16_e32 v126, v38, v39
	s_mov_b32 s2, 0xf0f1
	v_lshlrev_b32_sdwa v44, v37, v126 dst_sel:DWORD dst_unused:UNUSED_PAD src0_sel:DWORD src1_sel:BYTE_0
	v_mul_u32_u24_sdwa v37, v36, s2 dst_sel:DWORD dst_unused:UNUSED_PAD src0_sel:WORD_0 src1_sel:DWORD
	v_lshrrev_b32_e32 v127, 20, v37
	v_mul_lo_u16_e32 v37, 17, v127
	v_add_u32_e32 v102, 0x110, v98
	v_sub_u16_e32 v128, v36, v37
	v_lshlrev_b32_e32 v45, 4, v128
	global_load_dwordx4 v[36:39], v44, s[8:9]
	global_load_dwordx4 v[40:43], v45, s[8:9]
	v_mul_u32_u24_sdwa v44, v102, s2 dst_sel:DWORD dst_unused:UNUSED_PAD src0_sel:WORD_0 src1_sel:DWORD
	v_lshrrev_b32_e32 v144, 20, v44
	v_add_u32_e32 v103, 0x154, v98
	v_mul_lo_u16_e32 v44, 17, v144
	v_sub_u16_e32 v145, v102, v44
	v_mul_u32_u24_sdwa v44, v103, s2 dst_sel:DWORD dst_unused:UNUSED_PAD src0_sel:WORD_0 src1_sel:DWORD
	v_lshrrev_b32_e32 v146, 20, v44
	v_mul_lo_u16_e32 v44, 17, v146
	v_sub_u16_e32 v147, v103, v44
	v_add_u32_e32 v104, 0x198, v98
	v_add_u32_e32 v64, 0x1dc, v98
	v_lshlrev_b32_e32 v52, 4, v145
	v_lshlrev_b32_e32 v53, 4, v147
	global_load_dwordx4 v[44:47], v52, s[8:9]
	global_load_dwordx4 v[48:51], v53, s[8:9]
	v_mul_u32_u24_sdwa v52, v104, s2 dst_sel:DWORD dst_unused:UNUSED_PAD src0_sel:WORD_0 src1_sel:DWORD
	v_mul_u32_u24_sdwa v53, v64, s2 dst_sel:DWORD dst_unused:UNUSED_PAD src0_sel:WORD_0 src1_sel:DWORD
	v_lshrrev_b32_e32 v148, 20, v52
	v_lshrrev_b32_e32 v150, 20, v53
	v_mul_lo_u16_e32 v52, 17, v148
	v_mul_lo_u16_e32 v53, 17, v150
	v_sub_u16_e32 v149, v104, v52
	v_sub_u16_e32 v151, v64, v53
	v_lshlrev_b32_e32 v52, 4, v149
	v_lshlrev_b32_e32 v56, 4, v151
	global_load_dwordx4 v[52:55], v52, s[8:9]
	s_nop 0
	global_load_dwordx4 v[56:59], v56, s[8:9]
	v_add_u32_e32 v65, 0x220, v98
	v_mul_u32_u24_sdwa v60, v65, s2 dst_sel:DWORD dst_unused:UNUSED_PAD src0_sel:WORD_0 src1_sel:DWORD
	v_lshrrev_b32_e32 v152, 20, v60
	v_mul_lo_u16_e32 v60, 17, v152
	v_sub_u16_e32 v153, v65, v60
	v_lshlrev_b32_e32 v60, 4, v153
	global_load_dwordx4 v[60:63], v60, s[8:9]
	s_movk_i32 s2, 0x110
	v_mov_b32_e32 v129, 3
	v_mad_u32_u24 v66, v66, s2, 0
	v_lshlrev_b32_sdwa v67, v129, v67 dst_sel:DWORD dst_unused:UNUSED_PAD src0_sel:DWORD src1_sel:BYTE_0
	v_mad_u32_u24 v130, v123, s2, 0
	v_mad_u32_u24 v125, v125, s2, 0
	v_lshlrev_b32_sdwa v126, v129, v126 dst_sel:DWORD dst_unused:UNUSED_PAD src0_sel:DWORD src1_sel:BYTE_0
	v_add3_u32 v123, v66, v67, v122
	v_mad_u32_u24 v154, v127, s2, 0
	v_lshlrev_b32_sdwa v124, v129, v124 dst_sel:DWORD dst_unused:UNUSED_PAD src0_sel:DWORD src1_sel:BYTE_0
	v_add3_u32 v125, v125, v126, v122
	v_lshlrev_b32_e32 v155, 3, v128
	v_add3_u32 v124, v130, v124, v122
	s_waitcnt vmcnt(0) lgkmcnt(0)
	s_barrier
	v_mul_f64 v[66:67], v[2:3], v[34:35]
	v_mul_f64 v[126:127], v[16:17], v[30:31]
	v_fma_f64 v[66:67], v[70:71], v[32:33], -v[66:67]
	v_fma_f64 v[126:127], v[72:73], v[28:29], -v[126:127]
	v_mul_f64 v[128:129], v[18:19], v[38:39]
	v_mul_f64 v[130:131], v[20:21], v[42:43]
	v_add_f64 v[142:143], v[111:112], -v[66:67]
	v_add_f64 v[126:127], v[84:85], -v[126:127]
	v_fma_f64 v[128:129], v[74:75], v[36:37], -v[128:129]
	v_fma_f64 v[130:131], v[80:81], v[40:41], -v[130:131]
	v_fma_f64 v[111:112], v[111:112], 2.0, -v[142:143]
	v_fma_f64 v[84:85], v[84:85], 2.0, -v[126:127]
	v_mul_f64 v[132:133], v[22:23], v[46:47]
	v_mul_f64 v[134:135], v[24:25], v[50:51]
	v_add_f64 v[128:129], v[86:87], -v[128:129]
	v_add_f64 v[130:131], v[88:89], -v[130:131]
	v_fma_f64 v[132:133], v[82:83], v[44:45], -v[132:133]
	v_fma_f64 v[134:135], v[76:77], v[48:49], -v[134:135]
	v_fma_f64 v[86:87], v[86:87], 2.0, -v[128:129]
	v_mul_f64 v[136:137], v[26:27], v[54:55]
	v_mul_f64 v[138:139], v[117:118], v[58:59]
	v_fma_f64 v[88:89], v[88:89], 2.0, -v[130:131]
	ds_write2_b64 v123, v[111:112], v[142:143] offset1:17
	ds_write2_b64 v124, v[84:85], v[126:127] offset1:17
	;; [unrolled: 1-line block ×3, first 2 shown]
	v_add_f64 v[132:133], v[90:91], -v[132:133]
	v_add_f64 v[134:135], v[92:93], -v[134:135]
	v_mul_f64 v[140:141], v[119:120], v[62:63]
	v_fma_f64 v[136:137], v[78:79], v[52:53], -v[136:137]
	v_fma_f64 v[138:139], v[107:108], v[56:57], -v[138:139]
	v_mad_u32_u24 v85, v144, s2, 0
	v_lshlrev_b32_e32 v86, 3, v145
	v_add3_u32 v84, v154, v155, v122
	v_fma_f64 v[90:91], v[90:91], 2.0, -v[132:133]
	v_fma_f64 v[92:93], v[92:93], 2.0, -v[134:135]
	v_fma_f64 v[140:141], v[109:110], v[60:61], -v[140:141]
	v_add_f64 v[136:137], v[94:95], -v[136:137]
	v_add_f64 v[138:139], v[68:69], -v[138:139]
	v_add3_u32 v85, v85, v86, v122
	v_mad_u32_u24 v86, v146, s2, 0
	v_lshlrev_b32_e32 v87, 3, v147
	ds_write2_b64 v84, v[88:89], v[130:131] offset1:17
	v_add3_u32 v86, v86, v87, v122
	v_add_f64 v[66:67], v[105:106], -v[140:141]
	v_fma_f64 v[94:95], v[94:95], 2.0, -v[136:137]
	v_fma_f64 v[68:69], v[68:69], 2.0, -v[138:139]
	v_mad_u32_u24 v87, v148, s2, 0
	v_lshlrev_b32_e32 v88, 3, v149
	v_add3_u32 v89, v87, v88, v122
	v_mad_u32_u24 v87, v150, s2, 0
	v_lshlrev_b32_e32 v88, 3, v151
	ds_write2_b64 v85, v[90:91], v[132:133] offset1:17
	v_add3_u32 v90, v87, v88, v122
	v_mul_lo_u16_e32 v87, 34, v152
	v_lshl_add_u32 v88, v153, 3, 0
	ds_write2_b64 v86, v[92:93], v[134:135] offset1:17
	ds_write2_b64 v89, v[94:95], v[136:137] offset1:17
	;; [unrolled: 1-line block ×3, first 2 shown]
	s_and_saveexec_b64 s[2:3], vcc
	s_cbranch_execz .LBB0_18
; %bb.17:
	v_fma_f64 v[68:69], v[105:106], 2.0, -v[66:67]
	v_lshlrev_b32_e32 v91, 3, v87
	v_add3_u32 v91, v88, v91, v122
	ds_write2_b64 v91, v[68:69], v[66:67] offset1:17
.LBB0_18:
	s_or_b64 exec, exec, s[2:3]
	v_mul_f64 v[34:35], v[70:71], v[34:35]
	v_mul_f64 v[30:31], v[72:73], v[30:31]
	;; [unrolled: 1-line block ×8, first 2 shown]
	v_fma_f64 v[2:3], v[2:3], v[32:33], v[34:35]
	v_mul_f64 v[32:33], v[109:110], v[62:63]
	v_fma_f64 v[16:17], v[16:17], v[28:29], v[30:31]
	v_fma_f64 v[18:19], v[18:19], v[36:37], v[38:39]
	;; [unrolled: 1-line block ×8, first 2 shown]
	v_add_f64 v[34:35], v[115:116], -v[2:3]
	v_add_f64 v[36:37], v[4:5], -v[16:17]
	;; [unrolled: 1-line block ×8, first 2 shown]
	v_fma_f64 v[50:51], v[115:116], 2.0, -v[34:35]
	v_add_f64 v[56:57], v[113:114], -v[30:31]
	v_fma_f64 v[52:53], v[4:5], 2.0, -v[36:37]
	v_fma_f64 v[54:55], v[6:7], 2.0, -v[38:39]
	v_add_u32_e32 v62, 0x400, v99
	v_add_u32_e32 v63, 0x800, v99
	;; [unrolled: 1-line block ×7, first 2 shown]
	v_fma_f64 v[70:71], v[8:9], 2.0, -v[40:41]
	v_fma_f64 v[72:73], v[10:11], 2.0, -v[42:43]
	;; [unrolled: 1-line block ×5, first 2 shown]
	s_waitcnt lgkmcnt(0)
	s_barrier
	ds_read_b64 v[59:60], v121
	ds_read2_b64 v[28:31], v99 offset0:68 offset1:136
	ds_read2_b64 v[24:27], v62 offset0:76 offset1:144
	;; [unrolled: 1-line block ×8, first 2 shown]
	s_waitcnt lgkmcnt(0)
	s_barrier
	ds_write2_b64 v123, v[50:51], v[34:35] offset1:17
	ds_write2_b64 v124, v[52:53], v[36:37] offset1:17
	;; [unrolled: 1-line block ×8, first 2 shown]
	s_and_saveexec_b64 s[2:3], vcc
	s_cbranch_execz .LBB0_20
; %bb.19:
	v_fma_f64 v[34:35], v[113:114], 2.0, -v[56:57]
	v_lshlrev_b32_e32 v36, 3, v87
	v_add3_u32 v36, v88, v36, v122
	ds_write2_b64 v36, v[34:35], v[56:57] offset1:17
.LBB0_20:
	s_or_b64 exec, exec, s[2:3]
	v_subrev_u32_e32 v58, 34, v98
	v_cndmask_b32_e32 v118, v58, v98, vcc
	v_lshlrev_b32_e32 v34, 4, v118
	v_mov_b32_e32 v35, 0
	v_lshlrev_b64 v[34:35], 4, v[34:35]
	v_mov_b32_e32 v36, s9
	v_add_co_u32_e64 v42, s[2:3], s8, v34
	v_addc_co_u32_e64 v43, s[2:3], v36, v35, s[2:3]
	s_waitcnt lgkmcnt(0)
	s_barrier
	global_load_dwordx4 v[34:37], v[42:43], off offset:272
	global_load_dwordx4 v[38:41], v[42:43], off offset:288
	;; [unrolled: 1-line block ×16, first 2 shown]
	ds_read_b64 v[42:43], v121
	ds_read2_b64 v[76:79], v99 offset0:68 offset1:136
	ds_read2_b64 v[147:150], v62 offset0:76 offset1:144
	;; [unrolled: 1-line block ×8, first 2 shown]
	s_mov_b32 s36, 0xeb564b22
	s_mov_b32 s37, 0xbfefdd0d
	;; [unrolled: 1-line block ×44, first 2 shown]
	v_cmp_lt_u32_e64 s[2:3], 33, v98
	v_lshlrev_b32_e32 v118, 3, v118
	s_waitcnt vmcnt(0) lgkmcnt(0)
	s_barrier
	v_mul_f64 v[32:33], v[76:77], v[36:37]
	v_mul_f64 v[70:71], v[78:79], v[40:41]
	;; [unrolled: 1-line block ×8, first 2 shown]
	v_fma_f64 v[109:110], v[28:29], v[34:35], -v[32:33]
	v_fma_f64 v[105:106], v[30:31], v[38:39], -v[70:71]
	v_mul_f64 v[175:176], v[155:156], v[82:83]
	v_fma_f64 v[92:93], v[24:25], v[44:45], -v[92:93]
	v_fma_f64 v[94:95], v[78:79], v[38:39], v[40:41]
	v_mul_f64 v[50:51], v[26:27], v[50:51]
	v_fma_f64 v[78:79], v[26:27], v[48:49], -v[107:108]
	v_mul_f64 v[54:55], v[20:21], v[54:55]
	v_add_f64 v[28:29], v[59:60], v[109:110]
	v_mul_f64 v[119:120], v[153:154], v[74:75]
	v_mul_f64 v[82:83], v[16:17], v[82:83]
	;; [unrolled: 1-line block ×7, first 2 shown]
	v_add_f64 v[24:25], v[28:29], v[105:106]
	v_fma_f64 v[70:71], v[20:21], v[52:53], -v[115:116]
	v_fma_f64 v[38:39], v[16:17], v[80:81], -v[175:176]
	v_mul_f64 v[183:184], v[161:162], v[113:114]
	v_mul_f64 v[185:186], v[14:15], v[113:114]
	;; [unrolled: 1-line block ×5, first 2 shown]
	v_add_f64 v[24:25], v[24:25], v[92:93]
	v_mul_f64 v[141:142], v[8:9], v[141:142]
	v_fma_f64 v[113:114], v[76:77], v[34:35], v[36:37]
	v_fma_f64 v[76:77], v[149:150], v[48:49], v[50:51]
	;; [unrolled: 1-line block ×3, first 2 shown]
	v_fma_f64 v[48:49], v[22:23], v[72:73], -v[119:120]
	v_fma_f64 v[32:33], v[18:19], v[84:85], -v[177:178]
	v_fma_f64 v[28:29], v[157:158], v[84:85], v[86:87]
	v_add_f64 v[16:17], v[24:25], v[78:79]
	v_fma_f64 v[52:53], v[4:5], v[123:124], -v[187:188]
	v_fma_f64 v[84:85], v[173:174], v[143:144], v[145:146]
	v_mul_f64 v[133:134], v[0:1], v[133:134]
	v_mul_f64 v[193:194], v[169:170], v[137:138]
	v_fma_f64 v[36:37], v[155:156], v[80:81], v[82:83]
	v_fma_f64 v[82:83], v[0:1], v[131:132], -v[191:192]
	v_fma_f64 v[115:116], v[10:11], v[143:144], -v[197:198]
	v_add_f64 v[4:5], v[16:17], v[70:71]
	v_fma_f64 v[86:87], v[171:172], v[139:140], v[141:142]
	v_mul_f64 v[74:75], v[22:23], v[74:75]
	v_mul_f64 v[179:180], v[159:160], v[90:91]
	;; [unrolled: 1-line block ×5, first 2 shown]
	v_fma_f64 v[90:91], v[147:148], v[44:45], v[46:47]
	v_add_f64 v[0:1], v[4:5], v[48:49]
	v_add_f64 v[4:5], v[113:114], -v[84:85]
	v_fma_f64 v[44:45], v[14:15], v[111:112], -v[183:184]
	v_fma_f64 v[40:41], v[161:162], v[111:112], v[185:186]
	v_fma_f64 v[111:112], v[8:9], v[139:140], -v[195:196]
	v_fma_f64 v[107:108], v[2:3], v[135:136], -v[193:194]
	v_add_f64 v[2:3], v[109:110], v[115:116]
	v_add_f64 v[8:9], v[94:95], -v[86:87]
	v_mul_f64 v[129:130], v[6:7], v[129:130]
	v_mul_f64 v[16:17], v[4:5], s[36:37]
	v_fma_f64 v[46:47], v[153:154], v[72:73], v[74:75]
	v_fma_f64 v[34:35], v[12:13], v[88:89], -v[179:180]
	v_fma_f64 v[30:31], v[159:160], v[88:89], v[181:182]
	v_fma_f64 v[50:51], v[163:164], v[123:124], v[125:126]
	v_fma_f64 v[74:75], v[6:7], v[127:128], -v[189:190]
	v_fma_f64 v[88:89], v[169:170], v[135:136], v[137:138]
	v_add_f64 v[6:7], v[105:106], v[111:112]
	v_mul_f64 v[10:11], v[4:5], s[26:27]
	v_mul_f64 v[12:13], v[4:5], s[42:43]
	;; [unrolled: 1-line block ×4, first 2 shown]
	v_fma_f64 v[137:138], v[2:3], s[16:17], -v[16:17]
	v_fma_f64 v[16:17], v[2:3], s[16:17], v[16:17]
	v_fma_f64 v[80:81], v[167:168], v[131:132], v[133:134]
	v_mul_f64 v[18:19], v[4:5], s[20:21]
	v_mul_f64 v[20:21], v[4:5], s[24:25]
	;; [unrolled: 1-line block ×8, first 2 shown]
	v_fma_f64 v[131:132], v[2:3], s[10:11], -v[10:11]
	v_fma_f64 v[10:11], v[2:3], s[10:11], v[10:11]
	v_fma_f64 v[133:134], v[2:3], s[12:13], -v[12:13]
	v_fma_f64 v[12:13], v[2:3], s[12:13], v[12:13]
	v_fma_f64 v[135:136], v[2:3], s[6:7], -v[14:15]
	v_fma_f64 v[151:152], v[6:7], s[34:35], -v[123:124]
	v_fma_f64 v[123:124], v[6:7], s[34:35], v[123:124]
	v_add_f64 v[16:17], v[59:60], v[16:17]
	v_fma_f64 v[72:73], v[165:166], v[127:128], v[129:130]
	v_mul_f64 v[127:128], v[8:9], s[46:47]
	v_mul_f64 v[129:130], v[8:9], s[40:41]
	v_fma_f64 v[14:15], v[2:3], s[6:7], v[14:15]
	v_fma_f64 v[139:140], v[2:3], s[18:19], -v[18:19]
	v_fma_f64 v[18:19], v[2:3], s[18:19], v[18:19]
	v_fma_f64 v[141:142], v[2:3], s[22:23], -v[20:21]
	;; [unrolled: 2-line block ×7, first 2 shown]
	v_fma_f64 v[153:154], v[6:7], s[28:29], -v[125:126]
	v_add_f64 v[131:132], v[59:60], v[131:132]
	v_add_f64 v[10:11], v[59:60], v[10:11]
	;; [unrolled: 1-line block ×7, first 2 shown]
	v_fma_f64 v[123:124], v[6:7], s[28:29], v[125:126]
	v_add_f64 v[125:126], v[90:91], -v[88:89]
	v_add_f64 v[14:15], v[59:60], v[14:15]
	v_add_f64 v[139:140], v[59:60], v[139:140]
	;; [unrolled: 1-line block ×15, first 2 shown]
	v_fma_f64 v[131:132], v[6:7], s[18:19], -v[127:128]
	v_fma_f64 v[133:134], v[6:7], s[6:7], -v[129:130]
	v_mul_f64 v[8:9], v[8:9], s[48:49]
	v_add_f64 v[135:136], v[92:93], v[107:108]
	v_mul_f64 v[137:138], v[125:126], s[44:45]
	v_fma_f64 v[129:130], v[6:7], s[6:7], v[129:130]
	v_fma_f64 v[119:120], v[6:7], s[22:23], v[119:120]
	;; [unrolled: 1-line block ×3, first 2 shown]
	v_add_f64 v[18:19], v[123:124], v[18:19]
	v_add_f64 v[123:124], v[131:132], v[141:142]
	v_fma_f64 v[131:132], v[6:7], s[10:11], -v[8:9]
	v_fma_f64 v[6:7], v[6:7], s[10:11], v[8:9]
	v_fma_f64 v[8:9], v[135:136], s[6:7], -v[137:138]
	v_add_f64 v[22:23], v[129:130], v[22:23]
	v_mul_f64 v[129:130], v[125:126], s[24:25]
	v_add_f64 v[20:21], v[127:128], v[20:21]
	v_add_f64 v[127:128], v[133:134], v[143:144]
	v_mul_f64 v[133:134], v[125:126], s[58:59]
	v_mul_f64 v[141:142], v[125:126], s[50:51]
	v_add_f64 v[2:3], v[6:7], v[2:3]
	v_add_f64 v[4:5], v[8:9], v[4:5]
	v_fma_f64 v[6:7], v[135:136], s[6:7], v[137:138]
	v_fma_f64 v[8:9], v[135:136], s[22:23], -v[129:130]
	v_mul_f64 v[137:138], v[125:126], s[46:47]
	v_fma_f64 v[129:130], v[135:136], s[22:23], v[129:130]
	v_add_f64 v[14:15], v[119:120], v[14:15]
	v_add_f64 v[119:120], v[153:154], v[139:140]
	v_fma_f64 v[139:140], v[135:136], s[34:35], -v[133:134]
	v_add_f64 v[131:132], v[131:132], v[145:146]
	v_add_f64 v[6:7], v[6:7], v[10:11]
	v_fma_f64 v[10:11], v[135:136], s[34:35], v[133:134]
	v_fma_f64 v[133:134], v[135:136], s[18:19], -v[137:138]
	v_add_f64 v[8:9], v[8:9], v[24:25]
	v_add_f64 v[12:13], v[129:130], v[12:13]
	v_fma_f64 v[24:25], v[135:136], s[18:19], v[137:138]
	v_fma_f64 v[129:130], v[135:136], s[12:13], -v[141:142]
	v_mul_f64 v[137:138], v[125:126], s[26:27]
	v_add_f64 v[26:27], v[139:140], v[26:27]
	v_add_f64 v[10:11], v[10:11], v[14:15]
	;; [unrolled: 1-line block ×3, first 2 shown]
	v_mul_f64 v[59:60], v[125:126], s[36:37]
	v_fma_f64 v[133:134], v[135:136], s[12:13], v[141:142]
	v_add_f64 v[16:17], v[24:25], v[16:17]
	v_add_f64 v[24:25], v[76:77], -v[80:81]
	v_add_f64 v[119:120], v[129:130], v[119:120]
	v_fma_f64 v[129:130], v[135:136], s[10:11], -v[137:138]
	v_mul_f64 v[125:126], v[125:126], s[30:31]
	v_fma_f64 v[137:138], v[135:136], s[10:11], v[137:138]
	v_fma_f64 v[139:140], v[135:136], s[16:17], -v[59:60]
	v_add_f64 v[18:19], v[133:134], v[18:19]
	v_add_f64 v[133:134], v[78:79], v[82:83]
	v_mul_f64 v[141:142], v[24:25], s[36:37]
	v_fma_f64 v[59:60], v[135:136], s[16:17], v[59:60]
	v_add_f64 v[123:124], v[129:130], v[123:124]
	v_fma_f64 v[129:130], v[135:136], s[28:29], -v[125:126]
	v_add_f64 v[20:21], v[137:138], v[20:21]
	v_add_f64 v[127:128], v[139:140], v[127:128]
	v_mul_f64 v[139:140], v[24:25], s[48:49]
	v_fma_f64 v[125:126], v[135:136], s[28:29], v[125:126]
	v_fma_f64 v[137:138], v[133:134], s[16:17], -v[141:142]
	v_add_f64 v[22:23], v[59:60], v[22:23]
	v_mul_f64 v[59:60], v[24:25], s[46:47]
	v_add_f64 v[129:130], v[129:130], v[131:132]
	v_fma_f64 v[131:132], v[133:134], s[16:17], v[141:142]
	v_mul_f64 v[135:136], v[24:25], s[38:39]
	v_mul_f64 v[141:142], v[24:25], s[44:45]
	v_add_f64 v[2:3], v[125:126], v[2:3]
	v_add_f64 v[4:5], v[137:138], v[4:5]
	;; [unrolled: 1-line block ×3, first 2 shown]
	v_fma_f64 v[137:138], v[133:134], s[18:19], -v[59:60]
	v_fma_f64 v[59:60], v[133:134], s[18:19], v[59:60]
	v_add_f64 v[6:7], v[131:132], v[6:7]
	v_fma_f64 v[131:132], v[133:134], s[10:11], -v[139:140]
	v_fma_f64 v[125:126], v[133:134], s[34:35], -v[135:136]
	v_fma_f64 v[135:136], v[133:134], s[34:35], v[135:136]
	v_add_f64 v[0:1], v[0:1], v[32:33]
	v_add_f64 v[26:27], v[137:138], v[26:27]
	;; [unrolled: 1-line block ×3, first 2 shown]
	v_fma_f64 v[59:60], v[133:134], s[10:11], v[139:140]
	v_add_f64 v[14:15], v[131:132], v[14:15]
	v_fma_f64 v[131:132], v[133:134], s[6:7], -v[141:142]
	v_add_f64 v[8:9], v[125:126], v[8:9]
	v_mul_f64 v[125:126], v[24:25], s[30:31]
	v_add_f64 v[12:13], v[135:136], v[12:13]
	v_fma_f64 v[135:136], v[133:134], s[6:7], v[141:142]
	v_mul_f64 v[139:140], v[24:25], s[56:57]
	v_add_f64 v[16:17], v[59:60], v[16:17]
	v_mul_f64 v[24:25], v[24:25], s[50:51]
	v_add_f64 v[59:60], v[131:132], v[119:120]
	v_add_f64 v[119:120], v[54:55], -v[72:73]
	v_fma_f64 v[137:138], v[133:134], s[28:29], -v[125:126]
	v_fma_f64 v[125:126], v[133:134], s[28:29], v[125:126]
	v_add_f64 v[18:19], v[135:136], v[18:19]
	v_fma_f64 v[131:132], v[133:134], s[22:23], -v[139:140]
	v_fma_f64 v[135:136], v[133:134], s[22:23], v[139:140]
	v_add_f64 v[139:140], v[70:71], v[74:75]
	v_add_f64 v[0:1], v[0:1], v[34:35]
	v_mul_f64 v[141:142], v[119:120], s[20:21]
	v_add_f64 v[123:124], v[137:138], v[123:124]
	v_fma_f64 v[137:138], v[133:134], s[12:13], -v[24:25]
	v_fma_f64 v[24:25], v[133:134], s[12:13], v[24:25]
	v_add_f64 v[20:21], v[125:126], v[20:21]
	v_mul_f64 v[125:126], v[119:120], s[52:53]
	v_add_f64 v[127:128], v[131:132], v[127:128]
	v_mul_f64 v[131:132], v[119:120], s[50:51]
	v_fma_f64 v[133:134], v[139:140], s[18:19], -v[141:142]
	v_add_f64 v[22:23], v[135:136], v[22:23]
	v_add_f64 v[129:130], v[137:138], v[129:130]
	;; [unrolled: 1-line block ×3, first 2 shown]
	v_fma_f64 v[24:25], v[139:140], s[18:19], v[141:142]
	v_fma_f64 v[135:136], v[139:140], s[28:29], -v[125:126]
	v_fma_f64 v[125:126], v[139:140], s[28:29], v[125:126]
	v_fma_f64 v[137:138], v[139:140], s[12:13], -v[131:132]
	v_mul_f64 v[141:142], v[119:120], s[44:45]
	v_fma_f64 v[131:132], v[139:140], s[12:13], v[131:132]
	v_add_f64 v[4:5], v[133:134], v[4:5]
	v_mul_f64 v[133:134], v[119:120], s[38:39]
	v_add_f64 v[6:7], v[24:25], v[6:7]
	v_add_f64 v[8:9], v[135:136], v[8:9]
	;; [unrolled: 1-line block ×4, first 2 shown]
	v_fma_f64 v[26:27], v[139:140], s[6:7], -v[141:142]
	v_add_f64 v[10:11], v[131:132], v[10:11]
	v_fma_f64 v[125:126], v[139:140], s[6:7], v[141:142]
	v_fma_f64 v[131:132], v[139:140], s[34:35], -v[133:134]
	v_mul_f64 v[135:136], v[119:120], s[54:55]
	v_fma_f64 v[133:134], v[139:140], s[34:35], v[133:134]
	v_add_f64 v[137:138], v[48:49], v[52:53]
	v_add_f64 v[0:1], v[0:1], v[44:45]
	v_add_f64 v[14:15], v[26:27], v[14:15]
	v_mul_f64 v[26:27], v[119:120], s[26:27]
	v_add_f64 v[16:17], v[125:126], v[16:17]
	v_add_f64 v[59:60], v[131:132], v[59:60]
	v_add_f64 v[125:126], v[46:47], -v[50:51]
	v_mul_f64 v[119:120], v[119:120], s[24:25]
	v_fma_f64 v[131:132], v[139:140], s[16:17], -v[135:136]
	v_add_f64 v[18:19], v[133:134], v[18:19]
	v_fma_f64 v[133:134], v[139:140], s[16:17], v[135:136]
	v_fma_f64 v[135:136], v[139:140], s[10:11], -v[26:27]
	v_fma_f64 v[26:27], v[139:140], s[10:11], v[26:27]
	v_add_f64 v[0:1], v[0:1], v[52:53]
	v_mul_f64 v[141:142], v[125:126], s[24:25]
	v_fma_f64 v[143:144], v[139:140], s[22:23], -v[119:120]
	v_add_f64 v[123:124], v[131:132], v[123:124]
	v_fma_f64 v[119:120], v[139:140], s[22:23], v[119:120]
	v_mul_f64 v[131:132], v[125:126], s[46:47]
	v_add_f64 v[127:128], v[135:136], v[127:128]
	v_add_f64 v[22:23], v[26:27], v[22:23]
	v_mul_f64 v[135:136], v[125:126], s[30:31]
	v_fma_f64 v[26:27], v[137:138], s[22:23], -v[141:142]
	v_add_f64 v[20:21], v[133:134], v[20:21]
	v_mul_f64 v[133:134], v[125:126], s[26:27]
	v_add_f64 v[2:3], v[119:120], v[2:3]
	v_fma_f64 v[119:120], v[137:138], s[22:23], v[141:142]
	v_fma_f64 v[139:140], v[137:138], s[18:19], -v[131:132]
	v_fma_f64 v[131:132], v[137:138], s[18:19], v[131:132]
	v_add_f64 v[129:130], v[143:144], v[129:130]
	v_add_f64 v[4:5], v[26:27], v[4:5]
	v_mul_f64 v[26:27], v[125:126], s[54:55]
	v_fma_f64 v[141:142], v[137:138], s[10:11], -v[133:134]
	v_fma_f64 v[133:134], v[137:138], s[10:11], v[133:134]
	v_add_f64 v[6:7], v[119:120], v[6:7]
	v_fma_f64 v[119:120], v[137:138], s[28:29], -v[135:136]
	v_add_f64 v[12:13], v[131:132], v[12:13]
	v_fma_f64 v[131:132], v[137:138], s[28:29], v[135:136]
	v_add_f64 v[8:9], v[139:140], v[8:9]
	v_fma_f64 v[135:136], v[137:138], s[16:17], -v[26:27]
	v_fma_f64 v[26:27], v[137:138], s[16:17], v[26:27]
	v_add_f64 v[24:25], v[141:142], v[24:25]
	v_add_f64 v[10:11], v[133:134], v[10:11]
	;; [unrolled: 1-line block ×3, first 2 shown]
	v_mul_f64 v[119:120], v[125:126], s[38:39]
	v_add_f64 v[16:17], v[131:132], v[16:17]
	v_add_f64 v[131:132], v[36:37], -v[40:41]
	v_mul_f64 v[133:134], v[125:126], s[42:43]
	v_mul_f64 v[125:126], v[125:126], s[40:41]
	v_add_f64 v[18:19], v[26:27], v[18:19]
	v_add_f64 v[139:140], v[38:39], v[44:45]
	;; [unrolled: 1-line block ×3, first 2 shown]
	v_fma_f64 v[26:27], v[137:138], s[34:35], -v[119:120]
	v_fma_f64 v[119:120], v[137:138], s[34:35], v[119:120]
	v_mul_f64 v[141:142], v[131:132], s[30:31]
	v_fma_f64 v[135:136], v[137:138], s[12:13], -v[133:134]
	v_fma_f64 v[133:134], v[137:138], s[12:13], v[133:134]
	v_fma_f64 v[143:144], v[137:138], s[6:7], -v[125:126]
	v_fma_f64 v[125:126], v[137:138], s[6:7], v[125:126]
	v_add_f64 v[0:1], v[0:1], v[74:75]
	v_add_f64 v[26:27], v[26:27], v[127:128]
	v_mul_f64 v[127:128], v[131:132], s[40:41]
	v_add_f64 v[22:23], v[119:120], v[22:23]
	v_fma_f64 v[119:120], v[139:140], s[28:29], -v[141:142]
	v_add_f64 v[123:124], v[135:136], v[123:124]
	v_add_f64 v[20:21], v[133:134], v[20:21]
	v_mul_f64 v[133:134], v[131:132], s[36:37]
	v_fma_f64 v[135:136], v[139:140], s[28:29], v[141:142]
	v_add_f64 v[2:3], v[125:126], v[2:3]
	v_mul_f64 v[125:126], v[131:132], s[56:57]
	v_fma_f64 v[137:138], v[139:140], s[6:7], -v[127:128]
	v_fma_f64 v[127:128], v[139:140], s[6:7], v[127:128]
	v_add_f64 v[4:5], v[119:120], v[4:5]
	v_mul_f64 v[119:120], v[131:132], s[26:27]
	v_fma_f64 v[141:142], v[139:140], s[16:17], -v[133:134]
	v_add_f64 v[6:7], v[135:136], v[6:7]
	v_fma_f64 v[133:134], v[139:140], s[16:17], v[133:134]
	v_fma_f64 v[135:136], v[139:140], s[22:23], -v[125:126]
	v_fma_f64 v[125:126], v[139:140], s[22:23], v[125:126]
	v_add_f64 v[12:13], v[127:128], v[12:13]
	v_add_f64 v[8:9], v[137:138], v[8:9]
	v_fma_f64 v[127:128], v[139:140], s[10:11], -v[119:120]
	v_mul_f64 v[137:138], v[131:132], s[38:39]
	v_fma_f64 v[119:120], v[139:140], s[10:11], v[119:120]
	v_add_f64 v[10:11], v[133:134], v[10:11]
	v_mul_f64 v[133:134], v[131:132], s[50:51]
	v_add_f64 v[16:17], v[125:126], v[16:17]
	v_add_f64 v[24:25], v[141:142], v[24:25]
	;; [unrolled: 1-line block ×4, first 2 shown]
	v_add_f64 v[127:128], v[28:29], -v[30:31]
	v_fma_f64 v[59:60], v[139:140], s[34:35], -v[137:138]
	v_fma_f64 v[135:136], v[139:140], s[34:35], v[137:138]
	v_mul_f64 v[131:132], v[131:132], s[20:21]
	v_add_f64 v[18:19], v[119:120], v[18:19]
	v_fma_f64 v[119:120], v[139:140], s[12:13], -v[133:134]
	v_fma_f64 v[133:134], v[139:140], s[12:13], v[133:134]
	v_add_f64 v[137:138], v[32:33], v[34:35]
	v_mul_f64 v[141:142], v[127:128], s[38:39]
	v_add_f64 v[129:130], v[143:144], v[129:130]
	v_add_f64 v[123:124], v[59:60], v[123:124]
	;; [unrolled: 1-line block ×3, first 2 shown]
	v_fma_f64 v[59:60], v[139:140], s[18:19], -v[131:132]
	v_mul_f64 v[135:136], v[127:128], s[48:49]
	v_add_f64 v[26:27], v[119:120], v[26:27]
	v_add_f64 v[22:23], v[133:134], v[22:23]
	v_fma_f64 v[119:120], v[139:140], s[18:19], v[131:132]
	v_mul_f64 v[133:134], v[127:128], s[30:31]
	v_fma_f64 v[139:140], v[137:138], s[34:35], v[141:142]
	v_add_f64 v[0:1], v[0:1], v[82:83]
	v_fma_f64 v[131:132], v[137:138], s[34:35], -v[141:142]
	v_add_f64 v[129:130], v[59:60], v[129:130]
	v_fma_f64 v[141:142], v[137:138], s[10:11], -v[135:136]
	v_fma_f64 v[135:136], v[137:138], s[10:11], v[135:136]
	v_add_f64 v[2:3], v[119:120], v[2:3]
	v_fma_f64 v[119:120], v[137:138], s[28:29], -v[133:134]
	v_add_f64 v[60:61], v[139:140], v[6:7]
	v_fma_f64 v[6:7], v[137:138], s[28:29], v[133:134]
	v_mul_f64 v[143:144], v[127:128], s[50:51]
	v_add_f64 v[0:1], v[0:1], v[107:108]
	v_add_f64 v[4:5], v[131:132], v[4:5]
	;; [unrolled: 1-line block ×3, first 2 shown]
	v_mul_f64 v[135:136], v[127:128], s[24:25]
	v_add_f64 v[24:25], v[119:120], v[24:25]
	v_mul_f64 v[119:120], v[127:128], s[40:41]
	v_add_f64 v[6:7], v[6:7], v[10:11]
	v_mul_f64 v[10:11], v[127:128], s[20:21]
	v_mul_f64 v[127:128], v[127:128], s[54:55]
	v_fma_f64 v[131:132], v[137:138], s[12:13], -v[143:144]
	v_fma_f64 v[133:134], v[137:138], s[12:13], v[143:144]
	v_add_f64 v[0:1], v[0:1], v[111:112]
	v_add_f64 v[8:9], v[141:142], v[8:9]
	v_mov_b32_e32 v59, 0x1210
	v_cndmask_b32_e64 v59, 0, v59, s[2:3]
	v_fma_f64 v[139:140], v[137:138], s[18:19], -v[10:11]
	v_fma_f64 v[10:11], v[137:138], s[18:19], v[10:11]
	v_fma_f64 v[141:142], v[137:138], s[16:17], -v[127:128]
	v_fma_f64 v[127:128], v[137:138], s[16:17], v[127:128]
	v_add_f64 v[14:15], v[131:132], v[14:15]
	v_add_f64 v[16:17], v[133:134], v[16:17]
	v_fma_f64 v[131:132], v[137:138], s[22:23], -v[135:136]
	v_fma_f64 v[133:134], v[137:138], s[22:23], v[135:136]
	v_fma_f64 v[135:136], v[137:138], s[6:7], -v[119:120]
	v_fma_f64 v[119:120], v[137:138], s[6:7], v[119:120]
	v_add_f64 v[0:1], v[0:1], v[115:116]
	v_add_f64 v[10:11], v[10:11], v[22:23]
	v_add_f64 v[22:23], v[141:142], v[129:130]
	v_add_f64 v[2:3], v[127:128], v[2:3]
	v_add_f64 v[125:126], v[131:132], v[125:126]
	v_add_f64 v[18:19], v[133:134], v[18:19]
	v_add_f64 v[123:124], v[135:136], v[123:124]
	v_add_f64 v[20:21], v[119:120], v[20:21]
	v_add_f64 v[26:27], v[139:140], v[26:27]
	v_add_u32_e32 v59, 0, v59
	v_add3_u32 v59, v59, v118, v122
	ds_write2_b64 v59, v[0:1], v[4:5] offset1:34
	ds_write2_b64 v59, v[8:9], v[24:25] offset0:68 offset1:102
	ds_write2_b64 v59, v[14:15], v[125:126] offset0:136 offset1:170
	ds_write2_b64 v59, v[123:124], v[26:27] offset0:204 offset1:238
	v_add_u32_e32 v0, 0x800, v59
	ds_write2_b64 v0, v[22:23], v[2:3] offset0:16 offset1:50
	ds_write2_b64 v0, v[10:11], v[20:21] offset0:84 offset1:118
	ds_write2_b64 v0, v[18:19], v[16:17] offset0:152 offset1:186
	ds_write2_b64 v0, v[6:7], v[12:13] offset0:220 offset1:254
	ds_write_b64 v59, v[60:61] offset:4352
	s_waitcnt lgkmcnt(0)
	s_barrier
	ds_read2_b64 v[8:11], v68 offset0:92 offset1:194
	ds_read2_b64 v[0:3], v99 offset0:68 offset1:136
	;; [unrolled: 1-line block ×7, first 2 shown]
	ds_read_b64 v[62:63], v121
	ds_read_b64 v[68:69], v99 offset:8432
	s_and_saveexec_b64 s[2:3], vcc
	s_cbranch_execz .LBB0_22
; %bb.21:
	ds_read_b64 v[60:61], v99 offset:4352
	ds_read_b64 v[66:67], v99 offset:8976
.LBB0_22:
	s_or_b64 exec, exec, s[2:3]
	v_add_f64 v[117:118], v[42:43], v[113:114]
	v_add_f64 v[109:110], v[109:110], -v[115:116]
	v_add_f64 v[115:116], v[94:95], v[86:87]
	v_add_f64 v[105:106], v[105:106], -v[111:112]
	v_add_f64 v[111:112], v[90:91], v[88:89]
	v_add_f64 v[113:114], v[113:114], v[84:85]
	v_add_f64 v[92:93], v[92:93], -v[107:108]
	v_add_f64 v[78:79], v[78:79], -v[82:83]
	v_add_f64 v[94:95], v[117:118], v[94:95]
	v_mul_f64 v[107:108], v[109:110], s[26:27]
	v_mul_f64 v[117:118], v[109:110], s[42:43]
	;; [unrolled: 1-line block ×7, first 2 shown]
	v_add_f64 v[90:91], v[94:95], v[90:91]
	v_mul_f64 v[109:110], v[109:110], s[38:39]
	v_mul_f64 v[94:95], v[105:106], s[42:43]
	;; [unrolled: 1-line block ×5, first 2 shown]
	v_fma_f64 v[152:153], v[113:114], s[10:11], v[107:108]
	v_fma_f64 v[154:155], v[113:114], s[12:13], v[117:118]
	v_add_f64 v[90:91], v[90:91], v[76:77]
	v_fma_f64 v[117:118], v[113:114], s[12:13], -v[117:118]
	v_fma_f64 v[156:157], v[113:114], s[6:7], v[119:120]
	v_fma_f64 v[119:120], v[113:114], s[6:7], -v[119:120]
	v_fma_f64 v[158:159], v[113:114], s[16:17], v[122:123]
	v_mul_f64 v[136:137], v[105:106], s[52:53]
	v_mul_f64 v[138:139], v[105:106], s[46:47]
	;; [unrolled: 1-line block ×3, first 2 shown]
	v_add_f64 v[90:91], v[90:91], v[54:55]
	v_mul_f64 v[105:106], v[105:106], s[48:49]
	v_mul_f64 v[142:143], v[92:93], s[44:45]
	;; [unrolled: 1-line block ×5, first 2 shown]
	v_fma_f64 v[107:108], v[113:114], s[10:11], -v[107:108]
	v_fma_f64 v[122:123], v[113:114], s[16:17], -v[122:123]
	v_add_f64 v[90:91], v[90:91], v[46:47]
	v_fma_f64 v[160:161], v[113:114], s[18:19], v[124:125]
	v_fma_f64 v[124:125], v[113:114], s[18:19], -v[124:125]
	v_fma_f64 v[162:163], v[113:114], s[22:23], v[126:127]
	v_fma_f64 v[126:127], v[113:114], s[22:23], -v[126:127]
	;; [unrolled: 2-line block ×3, first 2 shown]
	v_fma_f64 v[166:167], v[113:114], s[34:35], v[109:110]
	v_add_f64 v[90:91], v[90:91], v[36:37]
	v_fma_f64 v[109:110], v[113:114], s[34:35], -v[109:110]
	v_fma_f64 v[113:114], v[115:116], s[12:13], v[94:95]
	v_fma_f64 v[168:169], v[115:116], s[16:17], v[130:131]
	v_fma_f64 v[130:131], v[115:116], s[16:17], -v[130:131]
	v_fma_f64 v[170:171], v[115:116], s[22:23], v[132:133]
	v_fma_f64 v[132:133], v[115:116], s[22:23], -v[132:133]
	v_fma_f64 v[172:173], v[115:116], s[34:35], v[134:135]
	v_add_f64 v[90:91], v[90:91], v[28:29]
	v_add_f64 v[152:153], v[42:43], v[152:153]
	;; [unrolled: 1-line block ×6, first 2 shown]
	v_mul_f64 v[150:151], v[92:93], s[50:51]
	v_fma_f64 v[94:95], v[115:116], s[12:13], -v[94:95]
	v_add_f64 v[90:91], v[90:91], v[30:31]
	v_fma_f64 v[134:135], v[115:116], s[34:35], -v[134:135]
	v_fma_f64 v[174:175], v[115:116], s[28:29], v[136:137]
	v_fma_f64 v[136:137], v[115:116], s[28:29], -v[136:137]
	v_fma_f64 v[176:177], v[115:116], s[18:19], v[138:139]
	;; [unrolled: 2-line block ×3, first 2 shown]
	v_fma_f64 v[140:141], v[115:116], s[6:7], -v[140:141]
	v_add_f64 v[90:91], v[90:91], v[40:41]
	v_fma_f64 v[180:181], v[115:116], s[10:11], v[105:106]
	v_fma_f64 v[105:106], v[115:116], s[10:11], -v[105:106]
	v_fma_f64 v[115:116], v[111:112], s[6:7], v[142:143]
	v_fma_f64 v[182:183], v[111:112], s[22:23], v[144:145]
	v_fma_f64 v[144:145], v[111:112], s[22:23], -v[144:145]
	v_fma_f64 v[184:185], v[111:112], s[34:35], v[146:147]
	v_fma_f64 v[146:147], v[111:112], s[34:35], -v[146:147]
	v_add_f64 v[90:91], v[90:91], v[50:51]
	v_fma_f64 v[186:187], v[111:112], s[18:19], v[148:149]
	v_add_f64 v[107:108], v[42:43], v[107:108]
	v_add_f64 v[154:155], v[42:43], v[154:155]
	;; [unrolled: 1-line block ×24, first 2 shown]
	v_mul_f64 v[115:116], v[92:93], s[26:27]
	v_fma_f64 v[117:118], v[111:112], s[12:13], -v[150:151]
	v_fma_f64 v[142:143], v[111:112], s[6:7], -v[142:143]
	v_add_f64 v[94:95], v[94:95], v[107:108]
	v_add_f64 v[132:133], v[176:177], v[162:163]
	;; [unrolled: 1-line block ×5, first 2 shown]
	v_mul_f64 v[82:83], v[92:93], s[30:31]
	v_add_f64 v[117:118], v[117:118], v[124:125]
	v_add_f64 v[76:77], v[76:77], v[80:81]
	v_mul_f64 v[80:81], v[78:79], s[36:37]
	v_fma_f64 v[148:149], v[111:112], s[18:19], -v[148:149]
	v_fma_f64 v[188:189], v[111:112], s[12:13], v[150:151]
	v_add_f64 v[84:85], v[86:87], v[84:85]
	v_add_f64 v[86:87], v[146:147], v[119:120]
	v_add_f64 v[119:120], v[186:187], v[130:131]
	v_mul_f64 v[130:131], v[92:93], s[36:37]
	v_fma_f64 v[92:93], v[111:112], s[10:11], v[115:116]
	v_fma_f64 v[115:116], v[111:112], s[10:11], -v[115:116]
	v_add_f64 v[107:108], v[168:169], v[154:155]
	v_add_f64 v[90:91], v[134:135], v[122:123]
	;; [unrolled: 1-line block ×4, first 2 shown]
	v_fma_f64 v[136:137], v[111:112], s[28:29], v[82:83]
	v_fma_f64 v[124:125], v[111:112], s[16:17], v[130:131]
	v_fma_f64 v[130:131], v[111:112], s[16:17], -v[130:131]
	v_add_f64 v[92:93], v[92:93], v[132:133]
	v_fma_f64 v[82:83], v[111:112], s[28:29], -v[82:83]
	v_add_f64 v[111:112], v[115:116], v[126:127]
	v_mul_f64 v[115:116], v[78:79], s[38:39]
	v_mul_f64 v[132:133], v[78:79], s[48:49]
	v_add_f64 v[122:123], v[174:175], v[160:161]
	v_add_f64 v[107:108], v[182:183], v[107:108]
	;; [unrolled: 1-line block ×3, first 2 shown]
	v_fma_f64 v[128:129], v[76:77], s[16:17], v[80:81]
	v_mul_f64 v[130:131], v[78:79], s[46:47]
	v_fma_f64 v[80:81], v[76:77], s[16:17], -v[80:81]
	v_add_f64 v[124:125], v[124:125], v[134:135]
	v_add_f64 v[42:43], v[82:83], v[42:43]
	v_fma_f64 v[82:83], v[76:77], s[34:35], v[115:116]
	v_fma_f64 v[115:116], v[76:77], s[34:35], -v[115:116]
	v_add_f64 v[90:91], v[148:149], v[90:91]
	v_add_f64 v[105:106], v[128:129], v[105:106]
	v_mul_f64 v[128:129], v[78:79], s[44:45]
	v_fma_f64 v[134:135], v[76:77], s[18:19], v[130:131]
	v_fma_f64 v[130:131], v[76:77], s[18:19], -v[130:131]
	v_add_f64 v[80:81], v[80:81], v[94:95]
	v_fma_f64 v[94:95], v[76:77], s[10:11], v[132:133]
	v_add_f64 v[122:123], v[188:189], v[122:123]
	v_add_f64 v[82:83], v[82:83], v[107:108]
	;; [unrolled: 1-line block ×3, first 2 shown]
	v_fma_f64 v[109:110], v[76:77], s[10:11], -v[132:133]
	v_fma_f64 v[115:116], v[76:77], s[6:7], v[128:129]
	v_add_f64 v[86:87], v[130:131], v[86:87]
	v_mul_f64 v[130:131], v[78:79], s[30:31]
	v_fma_f64 v[128:129], v[76:77], s[6:7], -v[128:129]
	v_add_f64 v[94:95], v[94:95], v[119:120]
	v_mul_f64 v[119:120], v[78:79], s[56:57]
	v_add_f64 v[70:71], v[70:71], -v[74:75]
	v_add_f64 v[90:91], v[109:110], v[90:91]
	v_add_f64 v[109:110], v[115:116], v[122:123]
	v_mul_f64 v[74:75], v[78:79], s[50:51]
	v_fma_f64 v[78:79], v[76:77], s[28:29], v[130:131]
	v_add_f64 v[115:116], v[128:129], v[117:118]
	v_fma_f64 v[117:118], v[76:77], s[28:29], -v[130:131]
	v_fma_f64 v[122:123], v[76:77], s[22:23], v[119:120]
	v_fma_f64 v[119:120], v[76:77], s[22:23], -v[119:120]
	v_add_f64 v[54:55], v[54:55], v[72:73]
	v_mul_f64 v[72:73], v[70:71], s[20:21]
	v_fma_f64 v[128:129], v[76:77], s[12:13], v[74:75]
	v_add_f64 v[78:79], v[78:79], v[92:93]
	v_fma_f64 v[74:75], v[76:77], s[12:13], -v[74:75]
	v_add_f64 v[76:77], v[117:118], v[111:112]
	v_mul_f64 v[92:93], v[70:71], s[52:53]
	v_add_f64 v[111:112], v[122:123], v[124:125]
	v_add_f64 v[117:118], v[119:120], v[126:127]
	v_fma_f64 v[119:120], v[54:55], s[18:19], v[72:73]
	v_mul_f64 v[122:123], v[70:71], s[50:51]
	v_fma_f64 v[72:73], v[54:55], s[18:19], -v[72:73]
	v_mul_f64 v[124:125], v[70:71], s[44:45]
	v_add_f64 v[42:43], v[74:75], v[42:43]
	v_fma_f64 v[74:75], v[54:55], s[28:29], v[92:93]
	v_fma_f64 v[92:93], v[54:55], s[28:29], -v[92:93]
	v_add_f64 v[48:49], v[48:49], -v[52:53]
	v_add_f64 v[105:106], v[119:120], v[105:106]
	v_mul_f64 v[119:120], v[70:71], s[38:39]
	v_fma_f64 v[126:127], v[54:55], s[12:13], v[122:123]
	v_fma_f64 v[122:123], v[54:55], s[12:13], -v[122:123]
	v_add_f64 v[72:73], v[72:73], v[80:81]
	v_fma_f64 v[80:81], v[54:55], s[6:7], v[124:125]
	v_add_f64 v[74:75], v[74:75], v[82:83]
	v_add_f64 v[82:83], v[92:93], v[107:108]
	v_fma_f64 v[92:93], v[54:55], s[6:7], -v[124:125]
	v_fma_f64 v[107:108], v[54:55], s[34:35], v[119:120]
	v_fma_f64 v[119:120], v[54:55], s[34:35], -v[119:120]
	v_add_f64 v[86:87], v[122:123], v[86:87]
	v_mul_f64 v[122:123], v[70:71], s[54:55]
	v_add_f64 v[80:81], v[80:81], v[94:95]
	v_mul_f64 v[94:95], v[70:71], s[26:27]
	v_mul_f64 v[52:53], v[70:71], s[24:25]
	v_add_f64 v[90:91], v[92:93], v[90:91]
	v_add_f64 v[92:93], v[107:108], v[109:110]
	;; [unrolled: 1-line block ×4, first 2 shown]
	v_fma_f64 v[70:71], v[54:55], s[16:17], v[122:123]
	v_fma_f64 v[109:110], v[54:55], s[16:17], -v[122:123]
	v_fma_f64 v[115:116], v[54:55], s[10:11], v[94:95]
	v_mul_f64 v[50:51], v[48:49], s[24:25]
	v_fma_f64 v[119:120], v[54:55], s[22:23], v[52:53]
	v_fma_f64 v[52:53], v[54:55], s[22:23], -v[52:53]
	v_fma_f64 v[94:95], v[54:55], s[10:11], -v[94:95]
	v_add_f64 v[38:39], v[38:39], -v[44:45]
	v_add_f64 v[70:71], v[70:71], v[78:79]
	v_add_f64 v[54:55], v[109:110], v[76:77]
	;; [unrolled: 1-line block ×3, first 2 shown]
	v_mul_f64 v[78:79], v[48:49], s[46:47]
	v_fma_f64 v[109:110], v[46:47], s[22:23], v[50:51]
	v_mul_f64 v[111:112], v[48:49], s[26:27]
	v_add_f64 v[42:43], v[52:53], v[42:43]
	v_fma_f64 v[50:51], v[46:47], s[22:23], -v[50:51]
	v_mul_f64 v[52:53], v[48:49], s[30:31]
	v_add_f64 v[94:95], v[94:95], v[117:118]
	v_mul_f64 v[44:45], v[48:49], s[40:41]
	v_fma_f64 v[115:116], v[46:47], s[18:19], v[78:79]
	v_fma_f64 v[78:79], v[46:47], s[18:19], -v[78:79]
	v_add_f64 v[105:106], v[109:110], v[105:106]
	v_mul_f64 v[109:110], v[48:49], s[54:55]
	v_fma_f64 v[117:118], v[46:47], s[10:11], v[111:112]
	v_fma_f64 v[111:112], v[46:47], s[10:11], -v[111:112]
	v_add_f64 v[50:51], v[50:51], v[72:73]
	v_fma_f64 v[72:73], v[46:47], s[28:29], v[52:53]
	v_fma_f64 v[52:53], v[46:47], s[28:29], -v[52:53]
	v_add_f64 v[78:79], v[78:79], v[82:83]
	v_add_f64 v[113:114], v[134:135], v[113:114]
	v_fma_f64 v[82:83], v[46:47], s[16:17], v[109:110]
	v_add_f64 v[36:37], v[36:37], v[40:41]
	v_add_f64 v[86:87], v[111:112], v[86:87]
	v_mul_f64 v[111:112], v[48:49], s[42:43]
	v_add_f64 v[72:73], v[72:73], v[80:81]
	v_fma_f64 v[80:81], v[46:47], s[16:17], -v[109:110]
	v_mul_f64 v[109:110], v[48:49], s[38:39]
	v_add_f64 v[52:53], v[52:53], v[90:91]
	v_add_f64 v[82:83], v[82:83], v[92:93]
	v_mul_f64 v[40:41], v[38:39], s[30:31]
	v_add_f64 v[88:89], v[180:181], v[166:167]
	v_fma_f64 v[48:49], v[46:47], s[12:13], v[111:112]
	v_fma_f64 v[90:91], v[46:47], s[12:13], -v[111:112]
	v_add_f64 v[80:81], v[80:81], v[107:108]
	v_fma_f64 v[92:93], v[46:47], s[34:35], v[109:110]
	v_fma_f64 v[107:108], v[46:47], s[34:35], -v[109:110]
	v_fma_f64 v[109:110], v[46:47], s[6:7], v[44:45]
	v_fma_f64 v[44:45], v[46:47], s[6:7], -v[44:45]
	v_add_f64 v[113:114], v[126:127], v[113:114]
	v_add_f64 v[48:49], v[48:49], v[70:71]
	;; [unrolled: 1-line block ×3, first 2 shown]
	v_mul_f64 v[70:71], v[38:39], s[40:41]
	v_add_f64 v[46:47], v[92:93], v[76:77]
	v_fma_f64 v[90:91], v[36:37], s[28:29], v[40:41]
	v_mul_f64 v[92:93], v[38:39], s[36:37]
	v_fma_f64 v[40:41], v[36:37], s[28:29], -v[40:41]
	v_add_f64 v[42:43], v[44:45], v[42:43]
	v_mul_f64 v[44:45], v[38:39], s[56:57]
	v_add_f64 v[88:89], v[136:137], v[88:89]
	v_add_f64 v[74:75], v[115:116], v[74:75]
	;; [unrolled: 1-line block ×4, first 2 shown]
	v_fma_f64 v[94:95], v[36:37], s[6:7], v[70:71]
	v_fma_f64 v[70:71], v[36:37], s[6:7], -v[70:71]
	v_add_f64 v[90:91], v[90:91], v[105:106]
	v_mul_f64 v[105:106], v[38:39], s[26:27]
	v_fma_f64 v[107:108], v[36:37], s[16:17], v[92:93]
	v_add_f64 v[40:41], v[40:41], v[50:51]
	v_fma_f64 v[50:51], v[36:37], s[16:17], -v[92:93]
	v_fma_f64 v[92:93], v[36:37], s[22:23], v[44:45]
	v_add_f64 v[88:89], v[128:129], v[88:89]
	v_add_f64 v[74:75], v[94:95], v[74:75]
	;; [unrolled: 1-line block ×3, first 2 shown]
	v_fma_f64 v[44:45], v[36:37], s[22:23], -v[44:45]
	v_fma_f64 v[70:71], v[36:37], s[10:11], v[105:106]
	v_add_f64 v[94:95], v[107:108], v[113:114]
	v_mul_f64 v[107:108], v[38:39], s[38:39]
	v_add_f64 v[72:73], v[92:93], v[72:73]
	v_mul_f64 v[92:93], v[38:39], s[50:51]
	v_add_f64 v[32:33], v[32:33], -v[34:35]
	v_add_f64 v[88:89], v[119:120], v[88:89]
	v_add_f64 v[50:51], v[50:51], v[86:87]
	v_fma_f64 v[86:87], v[36:37], s[10:11], -v[105:106]
	v_add_f64 v[44:45], v[44:45], v[52:53]
	v_add_f64 v[52:53], v[70:71], v[82:83]
	v_fma_f64 v[34:35], v[36:37], s[34:35], v[107:108]
	v_fma_f64 v[70:71], v[36:37], s[34:35], -v[107:108]
	v_mul_f64 v[38:39], v[38:39], s[20:21]
	v_fma_f64 v[82:83], v[36:37], s[12:13], v[92:93]
	v_add_f64 v[28:29], v[28:29], v[30:31]
	v_mul_f64 v[30:31], v[32:33], s[38:39]
	v_add_f64 v[88:89], v[109:110], v[88:89]
	v_add_f64 v[80:81], v[86:87], v[80:81]
	v_fma_f64 v[86:87], v[36:37], s[12:13], -v[92:93]
	v_add_f64 v[34:35], v[34:35], v[48:49]
	v_add_f64 v[48:49], v[70:71], v[54:55]
	v_fma_f64 v[54:55], v[36:37], s[18:19], v[38:39]
	v_mul_f64 v[70:71], v[32:33], s[48:49]
	v_add_f64 v[46:47], v[82:83], v[46:47]
	v_fma_f64 v[36:37], v[36:37], s[18:19], -v[38:39]
	v_fma_f64 v[38:39], v[28:29], s[34:35], v[30:31]
	v_mul_f64 v[82:83], v[32:33], s[30:31]
	v_fma_f64 v[30:31], v[28:29], s[34:35], -v[30:31]
	v_add_f64 v[76:77], v[86:87], v[76:77]
	v_add_f64 v[54:55], v[54:55], v[88:89]
	v_fma_f64 v[86:87], v[28:29], s[10:11], v[70:71]
	v_mul_f64 v[88:89], v[32:33], s[50:51]
	v_fma_f64 v[92:93], v[28:29], s[10:11], -v[70:71]
	v_add_f64 v[36:37], v[36:37], v[42:43]
	v_fma_f64 v[42:43], v[28:29], s[28:29], v[82:83]
	v_add_f64 v[70:71], v[30:31], v[40:41]
	v_fma_f64 v[30:31], v[28:29], s[28:29], -v[82:83]
	v_add_f64 v[38:39], v[38:39], v[90:91]
	v_add_f64 v[40:41], v[86:87], v[74:75]
	v_fma_f64 v[74:75], v[28:29], s[12:13], v[88:89]
	v_fma_f64 v[82:83], v[28:29], s[12:13], -v[88:89]
	v_mul_f64 v[86:87], v[32:33], s[24:25]
	v_mul_f64 v[88:89], v[32:33], s[40:41]
	v_add_f64 v[78:79], v[92:93], v[78:79]
	v_add_f64 v[30:31], v[30:31], v[50:51]
	v_mul_f64 v[50:51], v[32:33], s[20:21]
	v_mul_f64 v[32:33], v[32:33], s[54:55]
	v_add_f64 v[72:73], v[74:75], v[72:73]
	v_add_f64 v[44:45], v[82:83], v[44:45]
	v_fma_f64 v[74:75], v[28:29], s[22:23], v[86:87]
	v_fma_f64 v[82:83], v[28:29], s[22:23], -v[86:87]
	v_fma_f64 v[86:87], v[28:29], s[6:7], v[88:89]
	v_fma_f64 v[88:89], v[28:29], s[6:7], -v[88:89]
	v_fma_f64 v[90:91], v[28:29], s[18:19], v[50:51]
	v_fma_f64 v[50:51], v[28:29], s[18:19], -v[50:51]
	v_fma_f64 v[92:93], v[28:29], s[16:17], v[32:33]
	v_fma_f64 v[28:29], v[28:29], s[16:17], -v[32:33]
	v_add_f64 v[42:43], v[42:43], v[94:95]
	v_add_f64 v[32:33], v[74:75], v[52:53]
	;; [unrolled: 1-line block ×9, first 2 shown]
	s_waitcnt lgkmcnt(0)
	s_barrier
	ds_write2_b64 v59, v[84:85], v[38:39] offset1:34
	ds_write2_b64 v59, v[40:41], v[42:43] offset0:68 offset1:102
	ds_write2_b64 v59, v[72:73], v[32:33] offset0:136 offset1:170
	;; [unrolled: 1-line block ×3, first 2 shown]
	v_add_u32_e32 v32, 0x800, v59
	ds_write2_b64 v32, v[54:55], v[28:29] offset0:16 offset1:50
	ds_write2_b64 v32, v[50:51], v[48:49] offset0:84 offset1:118
	;; [unrolled: 1-line block ×4, first 2 shown]
	ds_write_b64 v59, v[70:71] offset:4352
	v_add_u32_e32 v28, 0xc00, v99
	v_add_u32_e32 v32, 0x1000, v99
	s_waitcnt lgkmcnt(0)
	s_barrier
	ds_read2_b64 v[36:39], v28 offset0:92 offset1:194
	ds_read2_b64 v[28:31], v99 offset0:68 offset1:136
	;; [unrolled: 1-line block ×3, first 2 shown]
	v_add_u32_e32 v32, 0x400, v99
	v_add_u32_e32 v52, 0x1800, v99
	;; [unrolled: 1-line block ×3, first 2 shown]
	ds_read2_b64 v[32:35], v32 offset0:76 offset1:144
	ds_read2_b64 v[48:51], v52 offset0:14 offset1:82
	;; [unrolled: 1-line block ×4, first 2 shown]
	ds_read_b64 v[72:73], v121
	ds_read_b64 v[74:75], v99 offset:8432
	s_and_saveexec_b64 s[2:3], vcc
	s_cbranch_execz .LBB0_24
; %bb.23:
	ds_read_b64 v[70:71], v99 offset:4352
	ds_read_b64 v[56:57], v99 offset:8976
	v_mov_b32_e32 v58, v65
.LBB0_24:
	s_or_b64 exec, exec, s[2:3]
	s_and_saveexec_b64 s[2:3], s[0:1]
	s_cbranch_execz .LBB0_27
; %bb.25:
	v_mov_b32_e32 v65, 0
	v_lshlrev_b64 v[76:77], 4, v[64:65]
	v_mov_b32_e32 v59, s9
	v_add_co_u32_e32 v64, vcc, s8, v76
	v_addc_co_u32_e32 v76, vcc, v59, v77, vcc
	v_add_co_u32_e32 v84, vcc, 0x2000, v64
	v_mov_b32_e32 v105, v65
	v_addc_co_u32_e32 v85, vcc, 0, v76, vcc
	v_lshlrev_b64 v[76:77], 4, v[104:105]
	s_movk_i32 s0, 0x2000
	v_add_co_u32_e32 v64, vcc, s8, v76
	v_addc_co_u32_e32 v76, vcc, v59, v77, vcc
	v_add_co_u32_e32 v86, vcc, s0, v64
	v_mov_b32_e32 v104, v65
	v_addc_co_u32_e32 v87, vcc, 0, v76, vcc
	global_load_dwordx4 v[76:79], v[84:85], off offset:784
	global_load_dwordx4 v[80:83], v[86:87], off offset:784
	v_lshlrev_b64 v[84:85], 4, v[103:104]
	v_mov_b32_e32 v103, v65
	v_add_co_u32_e32 v64, vcc, s8, v84
	v_addc_co_u32_e32 v84, vcc, v59, v85, vcc
	v_add_co_u32_e32 v92, vcc, s0, v64
	v_addc_co_u32_e32 v93, vcc, 0, v84, vcc
	v_lshlrev_b64 v[84:85], 4, v[102:103]
	v_mov_b32_e32 v99, v65
	v_add_co_u32_e32 v64, vcc, s8, v84
	v_addc_co_u32_e32 v84, vcc, v59, v85, vcc
	v_add_co_u32_e32 v94, vcc, s0, v64
	v_addc_co_u32_e32 v95, vcc, 0, v84, vcc
	global_load_dwordx4 v[84:87], v[92:93], off offset:784
	global_load_dwordx4 v[88:91], v[94:95], off offset:784
	v_lshlrev_b64 v[92:93], 4, v[98:99]
	s_movk_i32 s1, 0x242
	v_add_co_u32_e32 v64, vcc, s8, v92
	v_addc_co_u32_e32 v59, vcc, v59, v93, vcc
	v_add_co_u32_e32 v114, vcc, s0, v64
	v_addc_co_u32_e32 v115, vcc, 0, v59, vcc
	global_load_dwordx4 v[92:95], v[114:115], off offset:4048
	global_load_dwordx4 v[102:105], v[114:115], off offset:2960
	;; [unrolled: 1-line block ×4, first 2 shown]
	v_mul_lo_u32 v59, s5, v100
	v_mad_u64_u32 v[99:100], s[2:3], s4, v100, 0
	s_mov_b32 s2, 0xe2c4a689
	v_mul_lo_u32 v64, s4, v101
	v_add3_u32 v100, v100, v64, v59
	s_waitcnt vmcnt(7)
	v_mul_f64 v[114:115], v[68:69], v[78:79]
	s_waitcnt vmcnt(6)
	v_mul_f64 v[116:117], v[26:27], v[82:83]
	s_waitcnt lgkmcnt(0)
	v_mul_f64 v[78:79], v[74:75], v[78:79]
	v_mul_f64 v[82:83], v[54:55], v[82:83]
	v_fma_f64 v[74:75], v[74:75], v[76:77], v[114:115]
	v_fma_f64 v[54:55], v[54:55], v[80:81], v[116:117]
	v_fma_f64 v[68:69], v[68:69], v[76:77], -v[78:79]
	v_fma_f64 v[76:77], v[26:27], v[80:81], -v[82:83]
	v_add_f64 v[26:27], v[42:43], -v[54:55]
	s_waitcnt vmcnt(5)
	v_mul_f64 v[118:119], v[24:25], v[86:87]
	s_waitcnt vmcnt(4)
	v_mul_f64 v[120:121], v[22:23], v[90:91]
	v_mul_f64 v[90:91], v[50:51], v[90:91]
	;; [unrolled: 1-line block ×3, first 2 shown]
	v_fma_f64 v[52:53], v[52:53], v[84:85], v[118:119]
	s_waitcnt vmcnt(3)
	v_mul_f64 v[122:123], v[20:21], v[94:95]
	s_waitcnt vmcnt(2)
	v_mul_f64 v[124:125], v[14:15], v[104:105]
	v_mul_f64 v[104:105], v[46:47], v[104:105]
	s_waitcnt vmcnt(1)
	v_mul_f64 v[126:127], v[12:13], v[108:109]
	v_mul_f64 v[108:109], v[44:45], v[108:109]
	;; [unrolled: 1-line block ×3, first 2 shown]
	v_fma_f64 v[50:51], v[50:51], v[88:89], v[120:121]
	s_waitcnt vmcnt(0)
	v_mul_f64 v[128:129], v[10:11], v[112:113]
	v_mul_f64 v[112:113], v[38:39], v[112:113]
	v_fma_f64 v[80:81], v[22:23], v[88:89], -v[90:91]
	v_fma_f64 v[82:83], v[48:49], v[92:93], v[122:123]
	v_add_f64 v[22:23], v[36:37], -v[74:75]
	v_fma_f64 v[78:79], v[24:25], v[84:85], -v[86:87]
	v_fma_f64 v[86:87], v[46:47], v[102:103], v[124:125]
	v_fma_f64 v[14:15], v[14:15], v[102:103], -v[104:105]
	v_add_f64 v[24:25], v[18:19], -v[76:77]
	v_fma_f64 v[76:77], v[42:43], 2.0, -v[26:27]
	v_fma_f64 v[42:43], v[12:13], v[106:107], -v[108:109]
	v_fma_f64 v[84:85], v[20:21], v[92:93], -v[94:95]
	v_add_f64 v[20:21], v[8:9], -v[68:69]
	v_add_f64 v[50:51], v[34:35], -v[50:51]
	v_fma_f64 v[54:55], v[36:37], 2.0, -v[22:23]
	v_add_f64 v[36:37], v[32:33], -v[82:83]
	v_fma_f64 v[68:69], v[38:39], v[110:111], v[128:129]
	v_fma_f64 v[82:83], v[10:11], v[110:111], -v[112:113]
	v_add_f64 v[12:13], v[30:31], -v[86:87]
	v_add_f64 v[10:11], v[2:3], -v[14:15]
	;; [unrolled: 1-line block ×4, first 2 shown]
	v_fma_f64 v[52:53], v[8:9], 2.0, -v[20:21]
	v_fma_f64 v[8:9], v[34:35], 2.0, -v[50:51]
	v_add_f64 v[34:35], v[4:5], -v[84:85]
	v_add_f64 v[84:85], v[72:73], -v[68:69]
	;; [unrolled: 1-line block ×4, first 2 shown]
	v_fma_f64 v[80:81], v[32:33], 2.0, -v[36:37]
	v_fma_f64 v[32:33], v[30:31], 2.0, -v[12:13]
	;; [unrolled: 1-line block ×3, first 2 shown]
	v_mul_hi_u32 v2, v98, s2
	v_fma_f64 v[88:89], v[44:45], v[106:107], v[126:127]
	v_fma_f64 v[86:87], v[0:1], 2.0, -v[38:39]
	v_add_f64 v[44:45], v[16:17], -v[78:79]
	v_lshrrev_b32_e32 v0, 9, v2
	v_mul_u32_u24_e32 v0, 0x242, v0
	v_fma_f64 v[78:79], v[4:5], 2.0, -v[34:35]
	v_sub_u32_e32 v4, v98, v0
	v_lshlrev_b64 v[0:1], 4, v[99:100]
	v_fma_f64 v[92:93], v[72:73], 2.0, -v[84:85]
	v_fma_f64 v[90:91], v[62:63], 2.0, -v[82:83]
	v_mov_b32_e32 v2, s15
	v_add_co_u32_e32 v3, vcc, s14, v0
	v_fma_f64 v[74:75], v[18:19], 2.0, -v[24:25]
	v_fma_f64 v[18:19], v[40:41], 2.0, -v[46:47]
	v_add_f64 v[40:41], v[28:29], -v[88:89]
	v_addc_co_u32_e32 v5, vcc, v2, v1, vcc
	v_lshlrev_b64 v[0:1], 4, v[96:97]
	v_fma_f64 v[6:7], v[6:7], 2.0, -v[48:49]
	v_add_co_u32_e32 v2, vcc, v3, v0
	v_addc_co_u32_e32 v3, vcc, v5, v1, vcc
	v_lshlrev_b32_e32 v0, 4, v4
	v_add_u32_e32 v4, 0x44, v98
	v_add_co_u32_e32 v0, vcc, v2, v0
	v_mul_hi_u32 v5, v4, s2
	v_addc_co_u32_e32 v1, vcc, 0, v3, vcc
	global_store_dwordx4 v[0:1], v[90:93], off
	v_add_co_u32_e32 v0, vcc, s0, v0
	v_addc_co_u32_e32 v1, vcc, 0, v1, vcc
	v_fma_f64 v[88:89], v[28:29], 2.0, -v[40:41]
	global_store_dwordx4 v[0:1], v[82:85], off offset:1056
	v_lshrrev_b32_e32 v0, 9, v5
	v_mul_u32_u24_e32 v1, 0x242, v0
	v_sub_u32_e32 v1, v4, v1
	s_movk_i32 s0, 0x484
	v_mad_u32_u24 v64, v0, s0, v1
	v_lshlrev_b64 v[0:1], 4, v[64:65]
	v_add_u32_e32 v64, 0x242, v64
	v_add_co_u32_e32 v0, vcc, v2, v0
	v_addc_co_u32_e32 v1, vcc, v3, v1, vcc
	v_add_u32_e32 v4, 0x88, v98
	global_store_dwordx4 v[0:1], v[86:89], off
	v_lshlrev_b64 v[0:1], 4, v[64:65]
	v_mul_hi_u32 v5, v4, s2
	v_add_co_u32_e32 v0, vcc, v2, v0
	v_addc_co_u32_e32 v1, vcc, v3, v1, vcc
	global_store_dwordx4 v[0:1], v[38:41], off
	v_lshrrev_b32_e32 v0, 9, v5
	v_mul_u32_u24_e32 v1, 0x242, v0
	v_sub_u32_e32 v1, v4, v1
	v_mad_u32_u24 v64, v0, s0, v1
	v_lshlrev_b64 v[0:1], 4, v[64:65]
	v_add_u32_e32 v64, 0x242, v64
	v_add_co_u32_e32 v0, vcc, v2, v0
	v_addc_co_u32_e32 v1, vcc, v3, v1, vcc
	v_add_u32_e32 v4, 0xcc, v98
	global_store_dwordx4 v[0:1], v[30:33], off
	v_lshlrev_b64 v[0:1], 4, v[64:65]
	v_mul_hi_u32 v5, v4, s2
	v_add_co_u32_e32 v0, vcc, v2, v0
	v_addc_co_u32_e32 v1, vcc, v3, v1, vcc
	global_store_dwordx4 v[0:1], v[10:13], off
	v_lshrrev_b32_e32 v0, 9, v5
	v_mul_u32_u24_e32 v1, 0x242, v0
	v_sub_u32_e32 v1, v4, v1
	;; [unrolled: 15-line block ×3, first 2 shown]
	v_mad_u32_u24 v64, v0, s0, v1
	v_lshlrev_b64 v[0:1], 4, v[64:65]
	v_add_u32_e32 v64, 0x242, v64
	v_add_co_u32_e32 v0, vcc, v2, v0
	v_addc_co_u32_e32 v1, vcc, v3, v1, vcc
	v_add_u32_e32 v4, 0x154, v98
	global_store_dwordx4 v[0:1], v[6:9], off
	v_lshlrev_b64 v[0:1], 4, v[64:65]
	v_mul_hi_u32 v5, v4, s2
	v_add_co_u32_e32 v0, vcc, v2, v0
	v_addc_co_u32_e32 v1, vcc, v3, v1, vcc
	v_fma_f64 v[16:17], v[16:17], 2.0, -v[44:45]
	global_store_dwordx4 v[0:1], v[48:51], off
	v_lshrrev_b32_e32 v0, 9, v5
	v_mul_u32_u24_e32 v1, 0x242, v0
	v_sub_u32_e32 v1, v4, v1
	v_mad_u32_u24 v64, v0, s0, v1
	v_lshlrev_b64 v[0:1], 4, v[64:65]
	v_add_u32_e32 v64, 0x242, v64
	v_add_co_u32_e32 v0, vcc, v2, v0
	v_addc_co_u32_e32 v1, vcc, v3, v1, vcc
	v_add_u32_e32 v4, 0x198, v98
	global_store_dwordx4 v[0:1], v[16:19], off
	v_lshlrev_b64 v[0:1], 4, v[64:65]
	v_mul_hi_u32 v5, v4, s2
	v_add_co_u32_e32 v0, vcc, v2, v0
	v_addc_co_u32_e32 v1, vcc, v3, v1, vcc
	global_store_dwordx4 v[0:1], v[44:47], off
	v_lshrrev_b32_e32 v0, 9, v5
	v_mul_u32_u24_e32 v1, 0x242, v0
	v_sub_u32_e32 v1, v4, v1
	v_mad_u32_u24 v64, v0, s0, v1
	v_lshlrev_b64 v[0:1], 4, v[64:65]
	v_add_u32_e32 v64, 0x242, v64
	v_add_co_u32_e32 v0, vcc, v2, v0
	v_addc_co_u32_e32 v1, vcc, v3, v1, vcc
	v_add_u32_e32 v4, 0x1dc, v98
	global_store_dwordx4 v[0:1], v[74:77], off
	v_lshlrev_b64 v[0:1], 4, v[64:65]
	v_mul_hi_u32 v5, v4, s2
	v_add_co_u32_e32 v0, vcc, v2, v0
	v_addc_co_u32_e32 v1, vcc, v3, v1, vcc
	global_store_dwordx4 v[0:1], v[24:27], off
	v_lshrrev_b32_e32 v0, 9, v5
	v_mul_u32_u24_e32 v1, 0x242, v0
	v_sub_u32_e32 v1, v4, v1
	v_mad_u32_u24 v64, v0, s0, v1
	v_lshlrev_b64 v[0:1], 4, v[64:65]
	v_add_u32_e32 v64, 0x242, v64
	v_add_co_u32_e32 v0, vcc, v2, v0
	v_addc_co_u32_e32 v1, vcc, v3, v1, vcc
	global_store_dwordx4 v[0:1], v[52:55], off
	v_lshlrev_b64 v[0:1], 4, v[64:65]
	v_add_co_u32_e32 v0, vcc, v2, v0
	v_addc_co_u32_e32 v1, vcc, v3, v1, vcc
	global_store_dwordx4 v[0:1], v[20:23], off
	v_add_u32_e32 v0, 0x220, v98
	v_cmp_gt_u32_e32 vcc, s1, v0
	s_and_b64 exec, exec, vcc
	s_cbranch_execz .LBB0_27
; %bb.26:
	v_mov_b32_e32 v59, v65
	v_lshlrev_b64 v[4:5], 4, v[58:59]
	v_mov_b32_e32 v1, s9
	v_add_co_u32_e32 v4, vcc, s8, v4
	v_addc_co_u32_e32 v1, vcc, v1, v5, vcc
	v_add_co_u32_e32 v4, vcc, 0x2000, v4
	v_addc_co_u32_e32 v5, vcc, 0, v1, vcc
	global_load_dwordx4 v[4:7], v[4:5], off offset:784
	v_add_u32_e32 v64, 0x462, v98
	v_lshlrev_b64 v[12:13], 4, v[64:65]
	v_mov_b32_e32 v1, v65
	v_lshlrev_b64 v[0:1], 4, v[0:1]
	v_add_co_u32_e32 v12, vcc, v2, v12
	v_addc_co_u32_e32 v13, vcc, v3, v13, vcc
	v_add_co_u32_e32 v0, vcc, v2, v0
	v_addc_co_u32_e32 v1, vcc, v3, v1, vcc
	s_waitcnt vmcnt(0)
	v_mul_f64 v[8:9], v[56:57], v[6:7]
	v_mul_f64 v[6:7], v[66:67], v[6:7]
	v_fma_f64 v[8:9], v[66:67], v[4:5], -v[8:9]
	v_fma_f64 v[6:7], v[56:57], v[4:5], v[6:7]
	v_add_f64 v[4:5], v[60:61], -v[8:9]
	v_add_f64 v[6:7], v[70:71], -v[6:7]
	v_fma_f64 v[8:9], v[60:61], 2.0, -v[4:5]
	v_fma_f64 v[10:11], v[70:71], 2.0, -v[6:7]
	global_store_dwordx4 v[0:1], v[8:11], off
	global_store_dwordx4 v[12:13], v[4:7], off
.LBB0_27:
	s_endpgm
	.section	.rodata,"a",@progbits
	.p2align	6, 0x0
	.amdhsa_kernel fft_rtc_fwd_len1156_factors_17_2_17_2_wgs_204_tpt_68_halfLds_dp_op_CI_CI_unitstride_sbrr_dirReg
		.amdhsa_group_segment_fixed_size 0
		.amdhsa_private_segment_fixed_size 0
		.amdhsa_kernarg_size 104
		.amdhsa_user_sgpr_count 6
		.amdhsa_user_sgpr_private_segment_buffer 1
		.amdhsa_user_sgpr_dispatch_ptr 0
		.amdhsa_user_sgpr_queue_ptr 0
		.amdhsa_user_sgpr_kernarg_segment_ptr 1
		.amdhsa_user_sgpr_dispatch_id 0
		.amdhsa_user_sgpr_flat_scratch_init 0
		.amdhsa_user_sgpr_private_segment_size 0
		.amdhsa_uses_dynamic_stack 0
		.amdhsa_system_sgpr_private_segment_wavefront_offset 0
		.amdhsa_system_sgpr_workgroup_id_x 1
		.amdhsa_system_sgpr_workgroup_id_y 0
		.amdhsa_system_sgpr_workgroup_id_z 0
		.amdhsa_system_sgpr_workgroup_info 0
		.amdhsa_system_vgpr_workitem_id 0
		.amdhsa_next_free_vgpr 199
		.amdhsa_next_free_sgpr 60
		.amdhsa_reserve_vcc 1
		.amdhsa_reserve_flat_scratch 0
		.amdhsa_float_round_mode_32 0
		.amdhsa_float_round_mode_16_64 0
		.amdhsa_float_denorm_mode_32 3
		.amdhsa_float_denorm_mode_16_64 3
		.amdhsa_dx10_clamp 1
		.amdhsa_ieee_mode 1
		.amdhsa_fp16_overflow 0
		.amdhsa_exception_fp_ieee_invalid_op 0
		.amdhsa_exception_fp_denorm_src 0
		.amdhsa_exception_fp_ieee_div_zero 0
		.amdhsa_exception_fp_ieee_overflow 0
		.amdhsa_exception_fp_ieee_underflow 0
		.amdhsa_exception_fp_ieee_inexact 0
		.amdhsa_exception_int_div_zero 0
	.end_amdhsa_kernel
	.text
.Lfunc_end0:
	.size	fft_rtc_fwd_len1156_factors_17_2_17_2_wgs_204_tpt_68_halfLds_dp_op_CI_CI_unitstride_sbrr_dirReg, .Lfunc_end0-fft_rtc_fwd_len1156_factors_17_2_17_2_wgs_204_tpt_68_halfLds_dp_op_CI_CI_unitstride_sbrr_dirReg
                                        ; -- End function
	.section	.AMDGPU.csdata,"",@progbits
; Kernel info:
; codeLenInByte = 18456
; NumSgprs: 64
; NumVgprs: 199
; ScratchSize: 0
; MemoryBound: 1
; FloatMode: 240
; IeeeMode: 1
; LDSByteSize: 0 bytes/workgroup (compile time only)
; SGPRBlocks: 7
; VGPRBlocks: 49
; NumSGPRsForWavesPerEU: 64
; NumVGPRsForWavesPerEU: 199
; Occupancy: 1
; WaveLimiterHint : 1
; COMPUTE_PGM_RSRC2:SCRATCH_EN: 0
; COMPUTE_PGM_RSRC2:USER_SGPR: 6
; COMPUTE_PGM_RSRC2:TRAP_HANDLER: 0
; COMPUTE_PGM_RSRC2:TGID_X_EN: 1
; COMPUTE_PGM_RSRC2:TGID_Y_EN: 0
; COMPUTE_PGM_RSRC2:TGID_Z_EN: 0
; COMPUTE_PGM_RSRC2:TIDIG_COMP_CNT: 0
	.type	__hip_cuid_8651290be9c8e790,@object ; @__hip_cuid_8651290be9c8e790
	.section	.bss,"aw",@nobits
	.globl	__hip_cuid_8651290be9c8e790
__hip_cuid_8651290be9c8e790:
	.byte	0                               ; 0x0
	.size	__hip_cuid_8651290be9c8e790, 1

	.ident	"AMD clang version 19.0.0git (https://github.com/RadeonOpenCompute/llvm-project roc-6.4.0 25133 c7fe45cf4b819c5991fe208aaa96edf142730f1d)"
	.section	".note.GNU-stack","",@progbits
	.addrsig
	.addrsig_sym __hip_cuid_8651290be9c8e790
	.amdgpu_metadata
---
amdhsa.kernels:
  - .args:
      - .actual_access:  read_only
        .address_space:  global
        .offset:         0
        .size:           8
        .value_kind:     global_buffer
      - .offset:         8
        .size:           8
        .value_kind:     by_value
      - .actual_access:  read_only
        .address_space:  global
        .offset:         16
        .size:           8
        .value_kind:     global_buffer
      - .actual_access:  read_only
        .address_space:  global
        .offset:         24
        .size:           8
        .value_kind:     global_buffer
      - .actual_access:  read_only
        .address_space:  global
        .offset:         32
        .size:           8
        .value_kind:     global_buffer
      - .offset:         40
        .size:           8
        .value_kind:     by_value
      - .actual_access:  read_only
        .address_space:  global
        .offset:         48
        .size:           8
        .value_kind:     global_buffer
      - .actual_access:  read_only
        .address_space:  global
        .offset:         56
        .size:           8
        .value_kind:     global_buffer
      - .offset:         64
        .size:           4
        .value_kind:     by_value
      - .actual_access:  read_only
        .address_space:  global
        .offset:         72
        .size:           8
        .value_kind:     global_buffer
      - .actual_access:  read_only
        .address_space:  global
        .offset:         80
        .size:           8
        .value_kind:     global_buffer
      - .actual_access:  read_only
        .address_space:  global
        .offset:         88
        .size:           8
        .value_kind:     global_buffer
      - .actual_access:  write_only
        .address_space:  global
        .offset:         96
        .size:           8
        .value_kind:     global_buffer
    .group_segment_fixed_size: 0
    .kernarg_segment_align: 8
    .kernarg_segment_size: 104
    .language:       OpenCL C
    .language_version:
      - 2
      - 0
    .max_flat_workgroup_size: 204
    .name:           fft_rtc_fwd_len1156_factors_17_2_17_2_wgs_204_tpt_68_halfLds_dp_op_CI_CI_unitstride_sbrr_dirReg
    .private_segment_fixed_size: 0
    .sgpr_count:     64
    .sgpr_spill_count: 0
    .symbol:         fft_rtc_fwd_len1156_factors_17_2_17_2_wgs_204_tpt_68_halfLds_dp_op_CI_CI_unitstride_sbrr_dirReg.kd
    .uniform_work_group_size: 1
    .uses_dynamic_stack: false
    .vgpr_count:     199
    .vgpr_spill_count: 0
    .wavefront_size: 64
amdhsa.target:   amdgcn-amd-amdhsa--gfx906
amdhsa.version:
  - 1
  - 2
...

	.end_amdgpu_metadata
